;; amdgpu-corpus repo=ROCm/rocFFT kind=compiled arch=gfx950 opt=O3
	.text
	.amdgcn_target "amdgcn-amd-amdhsa--gfx950"
	.amdhsa_code_object_version 6
	.protected	fft_rtc_fwd_len2016_factors_2_2_2_2_2_3_3_7_wgs_224_tpt_112_halfLds_sp_ip_CI_sbrr_dirReg ; -- Begin function fft_rtc_fwd_len2016_factors_2_2_2_2_2_3_3_7_wgs_224_tpt_112_halfLds_sp_ip_CI_sbrr_dirReg
	.globl	fft_rtc_fwd_len2016_factors_2_2_2_2_2_3_3_7_wgs_224_tpt_112_halfLds_sp_ip_CI_sbrr_dirReg
	.p2align	8
	.type	fft_rtc_fwd_len2016_factors_2_2_2_2_2_3_3_7_wgs_224_tpt_112_halfLds_sp_ip_CI_sbrr_dirReg,@function
fft_rtc_fwd_len2016_factors_2_2_2_2_2_3_3_7_wgs_224_tpt_112_halfLds_sp_ip_CI_sbrr_dirReg: ; @fft_rtc_fwd_len2016_factors_2_2_2_2_2_3_3_7_wgs_224_tpt_112_halfLds_sp_ip_CI_sbrr_dirReg
; %bb.0:
	s_load_dwordx2 s[12:13], s[0:1], 0x18
	s_load_dwordx4 s[4:7], s[0:1], 0x0
	s_load_dwordx2 s[10:11], s[0:1], 0x50
	v_mul_u32_u24_e32 v1, 0x24a, v0
	v_lshrrev_b32_e32 v42, 16, v1
	s_waitcnt lgkmcnt(0)
	s_load_dwordx2 s[8:9], s[12:13], 0x0
	v_lshl_add_u32 v6, s2, 1, v42
	v_mov_b32_e32 v4, 0
	v_cmp_lt_u64_e64 s[2:3], s[6:7], 2
	v_mov_b32_e32 v7, v4
	s_and_b64 vcc, exec, s[2:3]
	v_mov_b64_e32 v[2:3], 0
	s_cbranch_vccnz .LBB0_8
; %bb.1:
	s_load_dwordx2 s[2:3], s[0:1], 0x10
	s_add_u32 s14, s12, 8
	s_addc_u32 s15, s13, 0
	s_mov_b64 s[16:17], 1
	v_mov_b64_e32 v[2:3], 0
	s_waitcnt lgkmcnt(0)
	s_add_u32 s18, s2, 8
	s_addc_u32 s19, s3, 0
.LBB0_2:                                ; =>This Inner Loop Header: Depth=1
	s_load_dwordx2 s[20:21], s[18:19], 0x0
                                        ; implicit-def: $vgpr8_vgpr9
	s_waitcnt lgkmcnt(0)
	v_or_b32_e32 v5, s21, v7
	v_cmp_ne_u64_e32 vcc, 0, v[4:5]
	s_and_saveexec_b64 s[2:3], vcc
	s_xor_b64 s[22:23], exec, s[2:3]
	s_cbranch_execz .LBB0_4
; %bb.3:                                ;   in Loop: Header=BB0_2 Depth=1
	v_cvt_f32_u32_e32 v1, s20
	v_cvt_f32_u32_e32 v5, s21
	s_sub_u32 s2, 0, s20
	s_subb_u32 s3, 0, s21
	v_fmac_f32_e32 v1, 0x4f800000, v5
	v_rcp_f32_e32 v1, v1
	s_nop 0
	v_mul_f32_e32 v1, 0x5f7ffffc, v1
	v_mul_f32_e32 v5, 0x2f800000, v1
	v_trunc_f32_e32 v5, v5
	v_fmac_f32_e32 v1, 0xcf800000, v5
	v_cvt_u32_f32_e32 v5, v5
	v_cvt_u32_f32_e32 v1, v1
	v_mul_lo_u32 v8, s2, v5
	v_mul_hi_u32 v10, s2, v1
	v_mul_lo_u32 v9, s3, v1
	v_add_u32_e32 v10, v10, v8
	v_mul_lo_u32 v12, s2, v1
	v_add_u32_e32 v13, v10, v9
	v_mul_hi_u32 v8, v1, v12
	v_mul_hi_u32 v11, v1, v13
	v_mul_lo_u32 v10, v1, v13
	v_mov_b32_e32 v9, v4
	v_lshl_add_u64 v[8:9], v[8:9], 0, v[10:11]
	v_mul_hi_u32 v11, v5, v12
	v_mul_lo_u32 v12, v5, v12
	v_add_co_u32_e32 v8, vcc, v8, v12
	v_mul_hi_u32 v10, v5, v13
	s_nop 0
	v_addc_co_u32_e32 v8, vcc, v9, v11, vcc
	v_mov_b32_e32 v9, v4
	s_nop 0
	v_addc_co_u32_e32 v11, vcc, 0, v10, vcc
	v_mul_lo_u32 v10, v5, v13
	v_lshl_add_u64 v[8:9], v[8:9], 0, v[10:11]
	v_add_co_u32_e32 v1, vcc, v1, v8
	v_mul_lo_u32 v10, s2, v1
	s_nop 0
	v_addc_co_u32_e32 v5, vcc, v5, v9, vcc
	v_mul_lo_u32 v8, s2, v5
	v_mul_hi_u32 v9, s2, v1
	v_add_u32_e32 v8, v9, v8
	v_mul_lo_u32 v9, s3, v1
	v_add_u32_e32 v12, v8, v9
	v_mul_hi_u32 v14, v5, v10
	v_mul_lo_u32 v15, v5, v10
	v_mul_hi_u32 v9, v1, v12
	v_mul_lo_u32 v8, v1, v12
	v_mul_hi_u32 v10, v1, v10
	v_mov_b32_e32 v11, v4
	v_lshl_add_u64 v[8:9], v[10:11], 0, v[8:9]
	v_add_co_u32_e32 v8, vcc, v8, v15
	v_mul_hi_u32 v13, v5, v12
	s_nop 0
	v_addc_co_u32_e32 v8, vcc, v9, v14, vcc
	v_mul_lo_u32 v10, v5, v12
	s_nop 0
	v_addc_co_u32_e32 v11, vcc, 0, v13, vcc
	v_mov_b32_e32 v9, v4
	v_lshl_add_u64 v[8:9], v[8:9], 0, v[10:11]
	v_add_co_u32_e32 v1, vcc, v1, v8
	v_mul_hi_u32 v10, v6, v1
	s_nop 0
	v_addc_co_u32_e32 v5, vcc, v5, v9, vcc
	v_mad_u64_u32 v[8:9], s[2:3], v6, v5, 0
	v_mov_b32_e32 v11, v4
	v_lshl_add_u64 v[8:9], v[10:11], 0, v[8:9]
	v_mad_u64_u32 v[12:13], s[2:3], v7, v1, 0
	v_add_co_u32_e32 v1, vcc, v8, v12
	v_mad_u64_u32 v[10:11], s[2:3], v7, v5, 0
	s_nop 0
	v_addc_co_u32_e32 v8, vcc, v9, v13, vcc
	v_mov_b32_e32 v9, v4
	s_nop 0
	v_addc_co_u32_e32 v11, vcc, 0, v11, vcc
	v_lshl_add_u64 v[8:9], v[8:9], 0, v[10:11]
	v_mul_lo_u32 v1, s21, v8
	v_mul_lo_u32 v5, s20, v9
	v_mad_u64_u32 v[10:11], s[2:3], s20, v8, 0
	v_add3_u32 v1, v11, v5, v1
	v_sub_u32_e32 v5, v7, v1
	v_mov_b32_e32 v11, s21
	v_sub_co_u32_e32 v14, vcc, v6, v10
	v_lshl_add_u64 v[12:13], v[8:9], 0, 1
	s_nop 0
	v_subb_co_u32_e64 v5, s[2:3], v5, v11, vcc
	v_subrev_co_u32_e64 v10, s[2:3], s20, v14
	v_subb_co_u32_e32 v1, vcc, v7, v1, vcc
	s_nop 0
	v_subbrev_co_u32_e64 v5, s[2:3], 0, v5, s[2:3]
	v_cmp_le_u32_e64 s[2:3], s21, v5
	v_cmp_le_u32_e32 vcc, s21, v1
	s_nop 0
	v_cndmask_b32_e64 v11, 0, -1, s[2:3]
	v_cmp_le_u32_e64 s[2:3], s20, v10
	s_nop 1
	v_cndmask_b32_e64 v10, 0, -1, s[2:3]
	v_cmp_eq_u32_e64 s[2:3], s21, v5
	s_nop 1
	v_cndmask_b32_e64 v5, v11, v10, s[2:3]
	v_lshl_add_u64 v[10:11], v[8:9], 0, 2
	v_cmp_ne_u32_e64 s[2:3], 0, v5
	s_nop 1
	v_cndmask_b32_e64 v5, v13, v11, s[2:3]
	v_cndmask_b32_e64 v11, 0, -1, vcc
	v_cmp_le_u32_e32 vcc, s20, v14
	s_nop 1
	v_cndmask_b32_e64 v13, 0, -1, vcc
	v_cmp_eq_u32_e32 vcc, s21, v1
	s_nop 1
	v_cndmask_b32_e32 v1, v11, v13, vcc
	v_cmp_ne_u32_e32 vcc, 0, v1
	v_cndmask_b32_e64 v1, v12, v10, s[2:3]
	s_nop 0
	v_cndmask_b32_e32 v9, v9, v5, vcc
	v_cndmask_b32_e32 v8, v8, v1, vcc
.LBB0_4:                                ;   in Loop: Header=BB0_2 Depth=1
	s_andn2_saveexec_b64 s[2:3], s[22:23]
	s_cbranch_execz .LBB0_6
; %bb.5:                                ;   in Loop: Header=BB0_2 Depth=1
	v_cvt_f32_u32_e32 v1, s20
	s_sub_i32 s22, 0, s20
	v_rcp_iflag_f32_e32 v1, v1
	s_nop 0
	v_mul_f32_e32 v1, 0x4f7ffffe, v1
	v_cvt_u32_f32_e32 v1, v1
	v_mul_lo_u32 v5, s22, v1
	v_mul_hi_u32 v5, v1, v5
	v_add_u32_e32 v1, v1, v5
	v_mul_hi_u32 v1, v6, v1
	v_mul_lo_u32 v5, v1, s20
	v_sub_u32_e32 v5, v6, v5
	v_add_u32_e32 v8, 1, v1
	v_subrev_u32_e32 v9, s20, v5
	v_cmp_le_u32_e32 vcc, s20, v5
	s_nop 1
	v_cndmask_b32_e32 v5, v5, v9, vcc
	v_cndmask_b32_e32 v1, v1, v8, vcc
	v_add_u32_e32 v8, 1, v1
	v_cmp_le_u32_e32 vcc, s20, v5
	v_mov_b32_e32 v9, v4
	s_nop 0
	v_cndmask_b32_e32 v8, v1, v8, vcc
.LBB0_6:                                ;   in Loop: Header=BB0_2 Depth=1
	s_or_b64 exec, exec, s[2:3]
	v_mad_u64_u32 v[10:11], s[2:3], v8, s20, 0
	s_load_dwordx2 s[2:3], s[14:15], 0x0
	v_mul_lo_u32 v1, v9, s20
	v_mul_lo_u32 v5, v8, s21
	v_add3_u32 v1, v11, v5, v1
	v_sub_co_u32_e32 v5, vcc, v6, v10
	s_add_u32 s16, s16, 1
	s_nop 0
	v_subb_co_u32_e32 v1, vcc, v7, v1, vcc
	s_addc_u32 s17, s17, 0
	s_waitcnt lgkmcnt(0)
	v_mul_lo_u32 v1, s2, v1
	v_mul_lo_u32 v6, s3, v5
	v_mad_u64_u32 v[2:3], s[2:3], s2, v5, v[2:3]
	s_add_u32 s14, s14, 8
	v_add3_u32 v3, v6, v3, v1
	s_addc_u32 s15, s15, 0
	v_mov_b64_e32 v[6:7], s[6:7]
	s_add_u32 s18, s18, 8
	v_cmp_ge_u64_e32 vcc, s[16:17], v[6:7]
	s_addc_u32 s19, s19, 0
	s_cbranch_vccnz .LBB0_9
; %bb.7:                                ;   in Loop: Header=BB0_2 Depth=1
	v_mov_b64_e32 v[6:7], v[8:9]
	s_branch .LBB0_2
.LBB0_8:
	v_mov_b64_e32 v[8:9], v[6:7]
.LBB0_9:
	s_lshl_b64 s[2:3], s[6:7], 3
	s_add_u32 s2, s12, s2
	s_addc_u32 s3, s13, s3
	s_load_dwordx2 s[6:7], s[2:3], 0x0
	s_load_dwordx2 s[12:13], s[0:1], 0x20
	s_mov_b32 s2, 0x2492493
                                        ; implicit-def: $vgpr14_vgpr15
                                        ; implicit-def: $vgpr60
                                        ; implicit-def: $vgpr43
                                        ; implicit-def: $vgpr44
                                        ; implicit-def: $vgpr45
	s_waitcnt lgkmcnt(0)
	v_mul_lo_u32 v1, s6, v9
	v_mul_lo_u32 v4, s7, v8
	v_mad_u64_u32 v[2:3], s[0:1], s6, v8, v[2:3]
	v_add3_u32 v3, v4, v3, v1
	v_mul_hi_u32 v1, v0, s2
	v_mul_u32_u24_e32 v1, 0x70, v1
	v_cmp_gt_u64_e32 vcc, s[12:13], v[8:9]
	v_cmp_le_u64_e64 s[0:1], s[12:13], v[8:9]
	v_sub_u32_e32 v78, v0, v1
                                        ; implicit-def: $vgpr0_vgpr1
                                        ; implicit-def: $sgpr2_sgpr3
	s_and_saveexec_b64 s[6:7], s[0:1]
	s_xor_b64 s[0:1], exec, s[6:7]
; %bb.10:
	v_add_u32_e32 v60, 0x70, v78
	v_add_u32_e32 v15, 0x150, v78
	;; [unrolled: 1-line block ×7, first 2 shown]
	v_or_b32_e32 v45, 0x380, v78
	s_mov_b64 s[2:3], 0
; %bb.11:
	s_or_saveexec_b64 s[0:1], s[0:1]
	v_mov_b64_e32 v[30:31], s[2:3]
	v_lshl_add_u64 v[12:13], v[2:3], 3, s[10:11]
	v_mov_b64_e32 v[2:3], s[2:3]
	v_mov_b64_e32 v[6:7], s[2:3]
	;; [unrolled: 1-line block ×8, first 2 shown]
                                        ; implicit-def: $vgpr40
                                        ; implicit-def: $vgpr10
                                        ; implicit-def: $vgpr22
                                        ; implicit-def: $vgpr24
                                        ; implicit-def: $vgpr32
                                        ; implicit-def: $vgpr38
                                        ; implicit-def: $vgpr34
                                        ; implicit-def: $vgpr20
                                        ; implicit-def: $vgpr8
	s_xor_b64 exec, exec, s[0:1]
	s_cbranch_execz .LBB0_13
; %bb.12:
	v_mad_u64_u32 v[0:1], s[2:3], s8, v78, 0
	v_mov_b32_e32 v2, v1
	v_mad_u64_u32 v[2:3], s[2:3], s9, v78, v[2:3]
	v_add_u32_e32 v5, 0x3f0, v78
	v_mov_b32_e32 v1, v2
	v_mad_u64_u32 v[2:3], s[2:3], s8, v5, 0
	v_mov_b32_e32 v4, v3
	v_mad_u64_u32 v[4:5], s[2:3], s9, v5, v[4:5]
	v_mov_b32_e32 v3, v4
	v_add_u32_e32 v60, 0x70, v78
	v_lshl_add_u64 v[4:5], v[2:3], 3, v[12:13]
	v_mad_u64_u32 v[2:3], s[2:3], s8, v60, 0
	v_mov_b32_e32 v6, v3
	v_mad_u64_u32 v[6:7], s[2:3], s9, v60, v[6:7]
	v_mov_b32_e32 v3, v6
	v_add_u32_e32 v9, 0x460, v78
	v_lshl_add_u64 v[6:7], v[2:3], 3, v[12:13]
	v_mad_u64_u32 v[2:3], s[2:3], s8, v9, 0
	v_mov_b32_e32 v8, v3
	v_mad_u64_u32 v[8:9], s[2:3], s9, v9, v[8:9]
	v_lshl_add_u64 v[0:1], v[0:1], 3, v[12:13]
	v_mov_b32_e32 v3, v8
	v_add_u32_e32 v14, 0xe0, v78
	v_lshl_add_u64 v[10:11], v[2:3], 3, v[12:13]
	global_load_dwordx2 v[30:31], v[0:1], off
	global_load_dwordx2 v[40:41], v[4:5], off
	;; [unrolled: 1-line block ×4, first 2 shown]
	v_mad_u64_u32 v[0:1], s[2:3], s8, v14, 0
	v_mov_b32_e32 v4, v1
	v_mad_u64_u32 v[4:5], s[2:3], s9, v14, v[4:5]
	v_add_u32_e32 v7, 0x4d0, v78
	v_mov_b32_e32 v1, v4
	v_mad_u64_u32 v[4:5], s[2:3], s8, v7, 0
	v_mov_b32_e32 v6, v5
	v_mad_u64_u32 v[6:7], s[2:3], s9, v7, v[6:7]
	v_add_u32_e32 v15, 0x150, v78
	v_mov_b32_e32 v5, v6
	v_lshl_add_u64 v[16:17], v[4:5], 3, v[12:13]
	v_mad_u64_u32 v[4:5], s[2:3], s8, v15, 0
	v_mov_b32_e32 v6, v5
	v_mad_u64_u32 v[6:7], s[2:3], s9, v15, v[6:7]
	v_mov_b32_e32 v5, v6
	v_add_u32_e32 v7, 0x540, v78
	v_lshl_add_u64 v[18:19], v[4:5], 3, v[12:13]
	v_mad_u64_u32 v[4:5], s[2:3], s8, v7, 0
	v_mov_b32_e32 v6, v5
	v_mad_u64_u32 v[6:7], s[2:3], s9, v7, v[6:7]
	v_lshl_add_u64 v[0:1], v[0:1], 3, v[12:13]
	v_mov_b32_e32 v5, v6
	v_lshl_add_u64 v[22:23], v[4:5], 3, v[12:13]
	global_load_dwordx2 v[6:7], v[0:1], off
	global_load_dwordx2 v[20:21], v[16:17], off
	;; [unrolled: 1-line block ×4, first 2 shown]
	v_add_u32_e32 v0, 0x1c0, v78
	v_mad_u64_u32 v[16:17], s[2:3], s8, v0, 0
	v_mov_b32_e32 v18, v17
	v_mad_u64_u32 v[18:19], s[2:3], s9, v0, v[18:19]
	v_mov_b32_e32 v17, v18
	v_add_u32_e32 v19, 0x5b0, v78
	v_lshl_add_u64 v[26:27], v[16:17], 3, v[12:13]
	v_mad_u64_u32 v[16:17], s[2:3], s8, v19, 0
	v_mov_b32_e32 v18, v17
	v_mad_u64_u32 v[18:19], s[2:3], s9, v19, v[18:19]
	v_add_u32_e32 v1, 0x230, v78
	v_mov_b32_e32 v17, v18
	v_lshl_add_u64 v[28:29], v[16:17], 3, v[12:13]
	v_mad_u64_u32 v[16:17], s[2:3], s8, v1, 0
	v_mov_b32_e32 v18, v17
	v_mad_u64_u32 v[18:19], s[2:3], s9, v1, v[18:19]
	v_mov_b32_e32 v17, v18
	v_add_u32_e32 v19, 0x620, v78
	v_lshl_add_u64 v[32:33], v[16:17], 3, v[12:13]
	v_mad_u64_u32 v[16:17], s[2:3], s8, v19, 0
	v_mov_b32_e32 v18, v17
	v_mad_u64_u32 v[18:19], s[2:3], s9, v19, v[18:19]
	v_mov_b32_e32 v17, v18
	v_add_u32_e32 v43, 0x2a0, v78
	v_lshl_add_u64 v[34:35], v[16:17], 3, v[12:13]
	global_load_dwordx2 v[16:17], v[26:27], off
	global_load_dwordx2 v[22:23], v[28:29], off
	;; [unrolled: 1-line block ×4, first 2 shown]
	v_mad_u64_u32 v[26:27], s[2:3], s8, v43, 0
	v_mov_b32_e32 v28, v27
	v_mad_u64_u32 v[28:29], s[2:3], s9, v43, v[28:29]
	v_mov_b32_e32 v27, v28
	v_add_u32_e32 v29, 0x690, v78
	v_lshl_add_u64 v[36:37], v[26:27], 3, v[12:13]
	v_mad_u64_u32 v[26:27], s[2:3], s8, v29, 0
	v_mov_b32_e32 v28, v27
	v_mad_u64_u32 v[28:29], s[2:3], s9, v29, v[28:29]
	v_mov_b32_e32 v27, v28
	v_add_u32_e32 v44, 0x310, v78
	v_lshl_add_u64 v[38:39], v[26:27], 3, v[12:13]
	v_mad_u64_u32 v[26:27], s[2:3], s8, v44, 0
	v_mov_b32_e32 v28, v27
	v_mad_u64_u32 v[28:29], s[2:3], s9, v44, v[28:29]
	v_mov_b32_e32 v27, v28
	v_or_b32_e32 v29, 0x700, v78
	v_lshl_add_u64 v[46:47], v[26:27], 3, v[12:13]
	v_mad_u64_u32 v[26:27], s[2:3], s8, v29, 0
	v_mov_b32_e32 v28, v27
	v_mad_u64_u32 v[28:29], s[2:3], s9, v29, v[28:29]
	v_mov_b32_e32 v27, v28
	v_or_b32_e32 v45, 0x380, v78
	v_lshl_add_u64 v[48:49], v[26:27], 3, v[12:13]
	global_load_dwordx2 v[26:27], v[36:37], off
	global_load_dwordx2 v[34:35], v[38:39], off
	global_load_dwordx2 v[28:29], v[46:47], off
	global_load_dwordx2 v[32:33], v[48:49], off
	v_mad_u64_u32 v[36:37], s[2:3], s8, v45, 0
	v_mov_b32_e32 v38, v37
	v_mad_u64_u32 v[38:39], s[2:3], s9, v45, v[38:39]
	v_mov_b32_e32 v37, v38
	v_add_u32_e32 v39, 0x770, v78
	v_lshl_add_u64 v[46:47], v[36:37], 3, v[12:13]
	v_mad_u64_u32 v[36:37], s[2:3], s8, v39, 0
	v_mov_b32_e32 v38, v37
	v_mad_u64_u32 v[38:39], s[2:3], s9, v39, v[38:39]
	v_mov_b32_e32 v37, v38
	v_lshl_add_u64 v[48:49], v[36:37], 3, v[12:13]
	global_load_dwordx2 v[36:37], v[46:47], off
	global_load_dwordx2 v[38:39], v[48:49], off
.LBB0_13:
	s_or_b64 exec, exec, s[0:1]
	v_and_b32_e32 v42, 1, v42
	v_mov_b32_e32 v46, 0x1f80
	v_cmp_eq_u32_e64 s[0:1], 1, v42
	s_waitcnt vmcnt(16)
	v_sub_f32_e32 v41, v31, v41
	v_sub_f32_e32 v47, v30, v40
	v_cndmask_b32_e64 v42, 0, v46, s[0:1]
	v_fma_f32 v40, v31, 2.0, -v41
	s_waitcnt vmcnt(14)
	v_sub_f32_e32 v31, v2, v8
	v_fma_f32 v46, v30, 2.0, -v47
	v_fma_f32 v30, v2, 2.0, -v31
	s_waitcnt vmcnt(12)
	v_sub_f32_e32 v49, v6, v20
	s_waitcnt vmcnt(10)
	v_sub_f32_e32 v51, v4, v10
	v_add_u32_e32 v2, 0, v42
	v_fma_f32 v48, v6, 2.0, -v49
	v_fma_f32 v50, v4, 2.0, -v51
	s_waitcnt vmcnt(8)
	v_sub_f32_e32 v53, v16, v22
	s_waitcnt vmcnt(6)
	v_sub_f32_e32 v55, v18, v24
	;; [unrolled: 2-line block ×3, first 2 shown]
	v_lshl_add_u32 v4, v78, 3, v2
	v_lshl_add_u32 v6, v60, 3, v2
	v_fma_f32 v52, v16, 2.0, -v53
	v_fma_f32 v54, v18, 2.0, -v55
	;; [unrolled: 1-line block ×3, first 2 shown]
	ds_write_b64 v4, v[46:47]
	ds_write_b64 v6, v[30:31]
	s_waitcnt vmcnt(2)
	v_sub_f32_e32 v31, v28, v32
	v_lshl_add_u32 v16, v14, 3, v2
	v_lshl_add_u32 v58, v15, 3, v2
	v_lshl_add_u32 v59, v0, 3, v2
	v_lshl_add_u32 v61, v1, 3, v2
	v_lshl_add_u32 v62, v43, 3, v2
	v_lshlrev_b32_e32 v8, 2, v78
	v_lshlrev_b32_e32 v10, 2, v43
	v_fma_f32 v30, v28, 2.0, -v31
	ds_write_b64 v16, v[48:49]
	ds_write_b64 v58, v[50:51]
	s_waitcnt vmcnt(0)
	v_sub_f32_e32 v47, v36, v38
	ds_write_b64 v59, v[52:53]
	ds_write_b64 v61, v[54:55]
	;; [unrolled: 1-line block ×3, first 2 shown]
	v_lshl_add_u32 v56, v44, 3, v2
	v_add_u32_e32 v28, v2, v8
	v_add3_u32 v24, 0, v8, v42
	v_lshlrev_b32_e32 v8, 2, v0
	v_sub_u32_e32 v18, v62, v10
	v_lshlrev_b32_e32 v10, 2, v44
	v_fma_f32 v46, v36, 2.0, -v47
	v_lshl_add_u32 v57, v45, 3, v2
	v_sub_u32_e32 v20, v59, v8
	v_lshlrev_b32_e32 v8, 2, v1
	v_sub_u32_e32 v34, v56, v10
	v_lshlrev_b32_e32 v10, 2, v45
	ds_write_b64 v56, v[30:31]
	ds_write_b64 v57, v[46:47]
	s_waitcnt lgkmcnt(0)
	s_barrier
	v_sub_u32_e32 v8, v61, v8
	v_sub_u32_e32 v36, v57, v10
	v_add_u32_e32 v38, 0xe00, v24
	v_lshl_add_u32 v31, v60, 2, v2
	v_lshl_add_u32 v30, v14, 2, v2
	v_add_u32_e32 v10, 0x1200, v24
	v_lshl_add_u32 v32, v15, 2, v2
	v_add_u32_e32 v22, 0x1600, v24
	v_add_u32_e32 v26, 0x1a00, v24
	ds_read_b32 v63, v28
	ds_read_b32 v64, v31
	ds_read_b32 v65, v32
	ds_read_b32 v66, v20
	ds_read_b32 v67, v8
	ds_read_b32 v68, v18
	ds_read_b32 v69, v34
	ds_read_b32 v70, v36
	ds_read_b32 v71, v30
	ds_read_b32 v72, v24 offset:7616
	ds_read2_b32 v[46:47], v38 offset0:112 offset1:224
	ds_read2_b32 v[48:49], v10 offset0:80 offset1:192
	;; [unrolled: 1-line block ×4, first 2 shown]
	s_waitcnt lgkmcnt(0)
	s_barrier
	ds_write_b64 v4, v[40:41]
	v_sub_f32_e32 v41, v3, v9
	v_fma_f32 v40, v3, 2.0, -v41
	ds_write_b64 v6, v[40:41]
	v_sub_f32_e32 v41, v7, v21
	v_fma_f32 v40, v7, 2.0, -v41
	v_sub_f32_e32 v7, v5, v11
	v_fma_f32 v6, v5, 2.0, -v7
	ds_write_b64 v16, v[40:41]
	ds_write_b64 v58, v[6:7]
	v_sub_f32_e32 v7, v19, v25
	v_sub_f32_e32 v5, v17, v23
	v_fma_f32 v6, v19, 2.0, -v7
	v_and_b32_e32 v19, 1, v78
	v_fma_f32 v4, v17, 2.0, -v5
	v_sub_f32_e32 v17, v27, v35
	v_sub_f32_e32 v41, v29, v33
	v_sub_f32_e32 v55, v37, v39
	v_lshlrev_b32_e32 v3, 3, v19
	v_fma_f32 v16, v27, 2.0, -v17
	v_fma_f32 v40, v29, 2.0, -v41
	;; [unrolled: 1-line block ×3, first 2 shown]
	ds_write_b64 v59, v[4:5]
	ds_write_b64 v61, v[6:7]
	;; [unrolled: 1-line block ×5, first 2 shown]
	s_waitcnt lgkmcnt(0)
	s_barrier
	global_load_dwordx2 v[4:5], v3, s[4:5]
	ds_read2_b32 v[6:7], v38 offset0:112 offset1:224
	ds_read2_b32 v[16:17], v10 offset0:80 offset1:192
	;; [unrolled: 1-line block ×4, first 2 shown]
	ds_read_b32 v21, v30
	ds_read_b32 v3, v24 offset:7616
	s_movk_i32 s0, 0xfc
	s_movk_i32 s1, 0x5fc
	v_cmp_lt_u32_e64 s[2:3], 63, v78
	s_waitcnt vmcnt(0)
	v_mul_f32_e32 v23, v46, v5
	s_waitcnt lgkmcnt(5)
	v_mul_f32_e32 v9, v6, v5
	v_fmac_f32_e32 v23, v6, v4
	v_mul_f32_e32 v6, v7, v5
	v_fma_f32 v11, v47, v4, -v6
	s_waitcnt lgkmcnt(4)
	v_mul_f32_e32 v6, v16, v5
	v_fma_f32 v27, v48, v4, -v6
	v_mul_f32_e32 v29, v48, v5
	v_mul_f32_e32 v6, v17, v5
	v_fmac_f32_e32 v29, v16, v4
	v_fma_f32 v16, v49, v4, -v6
	v_mul_f32_e32 v33, v49, v5
	s_waitcnt lgkmcnt(3)
	v_mul_f32_e32 v6, v40, v5
	v_fmac_f32_e32 v33, v17, v4
	v_fma_f32 v17, v50, v4, -v6
	v_mul_f32_e32 v6, v41, v5
	v_mul_f32_e32 v35, v50, v5
	v_fma_f32 v37, v51, v4, -v6
	s_waitcnt lgkmcnt(2)
	v_mul_f32_e32 v6, v54, v5
	v_fmac_f32_e32 v35, v40, v4
	v_mul_f32_e32 v39, v51, v5
	v_fma_f32 v40, v52, v4, -v6
	v_mul_f32_e32 v6, v55, v5
	v_fmac_f32_e32 v39, v41, v4
	v_fma_f32 v41, v53, v4, -v6
	s_waitcnt lgkmcnt(0)
	v_mul_f32_e32 v6, v3, v5
	v_fma_f32 v9, v46, v4, -v9
	v_mul_f32_e32 v50, v52, v5
	v_fma_f32 v46, v72, v4, -v6
	v_mul_f32_e32 v52, v72, v5
	v_lshlrev_b32_e32 v6, 1, v78
	v_mul_f32_e32 v25, v47, v5
	v_mul_f32_e32 v51, v53, v5
	v_fmac_f32_e32 v52, v3, v4
	v_sub_f32_e32 v3, v63, v9
	v_and_or_b32 v5, v6, s0, v19
	v_fmac_f32_e32 v25, v7, v4
	v_fmac_f32_e32 v50, v54, v4
	;; [unrolled: 1-line block ×3, first 2 shown]
	v_fma_f32 v4, v63, 2.0, -v3
	v_lshl_add_u32 v61, v5, 2, v2
	s_movk_i32 s0, 0x1fc
	v_lshlrev_b32_e32 v7, 1, v60
	ds_read_b32 v47, v28
	ds_read_b32 v53, v31
	;; [unrolled: 1-line block ×8, first 2 shown]
	s_waitcnt lgkmcnt(0)
	s_barrier
	ds_write2_b32 v61, v4, v3 offset1:2
	v_sub_f32_e32 v3, v64, v11
	v_and_or_b32 v5, v7, s0, v19
	v_fma_f32 v4, v64, 2.0, -v3
	v_lshl_add_u32 v62, v5, 2, v2
	s_movk_i32 s0, 0x3fc
	v_lshlrev_b32_e32 v11, 1, v14
	ds_write2_b32 v62, v4, v3 offset1:2
	v_sub_f32_e32 v3, v71, v27
	v_and_or_b32 v5, v11, s0, v19
	v_fma_f32 v4, v71, 2.0, -v3
	v_lshl_add_u32 v27, v5, 2, v2
	ds_write2_b32 v27, v4, v3 offset1:2
	v_sub_f32_e32 v3, v65, v16
	v_lshlrev_b32_e32 v16, 1, v15
	v_and_or_b32 v5, v16, s0, v19
	v_fma_f32 v4, v65, 2.0, -v3
	v_lshl_add_u32 v63, v5, 2, v2
	ds_write2_b32 v63, v4, v3 offset1:2
	s_movk_i32 s0, 0x7fc
	v_lshlrev_b32_e32 v3, 1, v0
	v_sub_f32_e32 v4, v66, v17
	v_and_or_b32 v9, v3, s0, v19
	v_fma_f32 v5, v66, 2.0, -v4
	v_lshl_add_u32 v64, v9, 2, v2
	ds_write2_b32 v64, v5, v4 offset1:2
	v_lshlrev_b32_e32 v4, 1, v1
	v_sub_f32_e32 v5, v67, v37
	v_and_or_b32 v17, v4, s1, v19
	v_fma_f32 v9, v67, 2.0, -v5
	v_lshl_add_u32 v37, v17, 2, v2
	ds_write2_b32 v37, v9, v5 offset1:2
	;; [unrolled: 6-line block ×4, first 2 shown]
	v_lshlrev_b32_e32 v17, 1, v45
	v_sub_f32_e32 v23, v47, v23
	v_sub_f32_e32 v40, v70, v46
	v_and_or_b32 v19, v17, s0, v19
	v_fma_f32 v66, v47, 2.0, -v23
	v_fma_f32 v41, v70, 2.0, -v40
	v_lshl_add_u32 v19, v19, 2, v2
	ds_write2_b32 v19, v41, v40 offset1:2
	s_waitcnt lgkmcnt(0)
	s_barrier
	ds_read_b32 v67, v28
	ds_read_b32 v68, v31
	;; [unrolled: 1-line block ×9, first 2 shown]
	ds_read_b32 v76, v24 offset:7616
	ds_read2_b32 v[40:41], v38 offset0:112 offset1:224
	ds_read2_b32 v[44:45], v10 offset0:80 offset1:192
	;; [unrolled: 1-line block ×4, first 2 shown]
	s_waitcnt lgkmcnt(0)
	s_barrier
	ds_write2_b32 v61, v66, v23 offset1:2
	v_sub_f32_e32 v23, v53, v25
	v_fma_f32 v25, v53, 2.0, -v23
	ds_write2_b32 v62, v25, v23 offset1:2
	v_sub_f32_e32 v23, v21, v29
	v_fma_f32 v21, v21, 2.0, -v23
	;; [unrolled: 3-line block ×6, first 2 shown]
	v_sub_f32_e32 v25, v58, v51
	v_sub_f32_e32 v29, v59, v52
	v_fma_f32 v27, v58, 2.0, -v25
	v_fma_f32 v33, v59, 2.0, -v29
	ds_write2_b32 v43, v23, v21 offset1:2
	ds_write2_b32 v65, v27, v25 offset1:2
	;; [unrolled: 1-line block ×3, first 2 shown]
	v_and_b32_e32 v19, 3, v78
	v_lshlrev_b32_e32 v21, 3, v19
	s_waitcnt lgkmcnt(0)
	s_barrier
	global_load_dwordx2 v[50:51], v21, s[4:5] offset:16
	ds_read2_b32 v[52:53], v38 offset0:112 offset1:224
	ds_read2_b32 v[54:55], v10 offset0:80 offset1:192
	s_movk_i32 s0, 0xf8
	ds_read_b32 v56, v30
	s_movk_i32 s1, 0x5f8
	s_waitcnt vmcnt(0) lgkmcnt(2)
	v_mul_f32_e32 v21, v52, v51
	v_mul_f32_e32 v25, v53, v51
	v_fma_f32 v21, v40, v50, -v21
	v_mul_f32_e32 v23, v40, v51
	v_fma_f32 v25, v41, v50, -v25
	v_mul_f32_e32 v27, v41, v51
	ds_read2_b32 v[40:41], v22 offset0:48 offset1:160
	s_waitcnt lgkmcnt(2)
	v_mul_f32_e32 v29, v54, v51
	v_mul_f32_e32 v35, v55, v51
	v_fmac_f32_e32 v23, v52, v50
	v_fma_f32 v29, v44, v50, -v29
	s_waitcnt lgkmcnt(0)
	v_mul_f32_e32 v39, v40, v51
	v_mul_f32_e32 v33, v44, v51
	v_fma_f32 v35, v45, v50, -v35
	v_mul_f32_e32 v37, v45, v51
	v_fma_f32 v39, v46, v50, -v39
	ds_read2_b32 v[44:45], v26 offset0:16 offset1:128
	v_mul_f32_e32 v52, v46, v51
	ds_read_b32 v46, v24 offset:7616
	v_mul_f32_e32 v43, v41, v51
	v_fmac_f32_e32 v27, v53, v50
	v_fmac_f32_e32 v33, v54, v50
	;; [unrolled: 1-line block ×3, first 2 shown]
	v_fma_f32 v43, v47, v50, -v43
	v_mul_f32_e32 v53, v47, v51
	v_mul_f32_e32 v54, v48, v51
	;; [unrolled: 1-line block ×3, first 2 shown]
	v_sub_f32_e32 v21, v67, v21
	v_and_or_b32 v47, v6, s0, v19
	v_fmac_f32_e32 v52, v40, v50
	v_fmac_f32_e32 v53, v41, v50
	s_waitcnt lgkmcnt(1)
	v_mul_f32_e32 v40, v44, v51
	v_mul_f32_e32 v41, v45, v51
	v_fmac_f32_e32 v54, v44, v50
	v_fmac_f32_e32 v55, v45, v50
	s_waitcnt lgkmcnt(0)
	v_mul_f32_e32 v44, v46, v51
	v_mul_f32_e32 v51, v76, v51
	v_fma_f32 v45, v67, 2.0, -v21
	v_lshl_add_u32 v64, v47, 2, v2
	s_movk_i32 s0, 0x1f8
	v_fma_f32 v40, v48, v50, -v40
	v_fma_f32 v41, v49, v50, -v41
	;; [unrolled: 1-line block ×3, first 2 shown]
	v_fmac_f32_e32 v51, v46, v50
	ds_read_b32 v46, v28
	ds_read_b32 v50, v31
	ds_read_b32 v57, v32
	ds_read_b32 v58, v20
	ds_read_b32 v59, v8
	ds_read_b32 v61, v18
	ds_read_b32 v62, v34
	ds_read_b32 v63, v36
	s_waitcnt lgkmcnt(0)
	s_barrier
	ds_write2_b32 v64, v45, v21 offset1:4
	v_sub_f32_e32 v21, v68, v25
	v_and_or_b32 v45, v7, s0, v19
	v_fma_f32 v25, v68, 2.0, -v21
	v_lshl_add_u32 v65, v45, 2, v2
	s_movk_i32 s0, 0x3f8
	ds_write2_b32 v65, v25, v21 offset1:4
	v_sub_f32_e32 v21, v75, v29
	v_and_or_b32 v29, v11, s0, v19
	v_fma_f32 v25, v75, 2.0, -v21
	v_lshl_add_u32 v29, v29, 2, v2
	ds_write2_b32 v29, v25, v21 offset1:4
	v_sub_f32_e32 v21, v69, v35
	v_and_or_b32 v35, v16, s0, v19
	v_fma_f32 v25, v69, 2.0, -v21
	v_lshl_add_u32 v35, v35, 2, v2
	s_movk_i32 s0, 0x7f8
	ds_write2_b32 v35, v25, v21 offset1:4
	v_sub_f32_e32 v21, v70, v39
	v_and_or_b32 v39, v3, s0, v19
	v_fma_f32 v25, v70, 2.0, -v21
	v_lshl_add_u32 v39, v39, 2, v2
	ds_write2_b32 v39, v25, v21 offset1:4
	v_sub_f32_e32 v21, v71, v43
	v_and_or_b32 v43, v4, s1, v19
	v_fma_f32 v25, v71, 2.0, -v21
	v_lshl_add_u32 v43, v43, 2, v2
	;; [unrolled: 5-line block ×4, first 2 shown]
	ds_write2_b32 v67, v25, v21 offset1:4
	v_sub_f32_e32 v21, v46, v23
	v_sub_f32_e32 v25, v74, v44
	v_and_or_b32 v19, v17, s0, v19
	v_fma_f32 v23, v46, 2.0, -v21
	v_fma_f32 v40, v74, 2.0, -v25
	v_lshl_add_u32 v19, v19, 2, v2
	ds_write2_b32 v19, v40, v25 offset1:4
	s_waitcnt lgkmcnt(0)
	s_barrier
	ds_read_b32 v25, v28
	ds_read_b32 v68, v31
	ds_read_b32 v69, v32
	ds_read_b32 v70, v20
	ds_read_b32 v71, v8
	ds_read_b32 v72, v18
	ds_read_b32 v73, v34
	ds_read_b32 v74, v36
	ds_read_b32 v75, v30
	ds_read_b32 v76, v24 offset:7616
	ds_read2_b32 v[40:41], v38 offset0:112 offset1:224
	ds_read2_b32 v[44:45], v10 offset0:80 offset1:192
	;; [unrolled: 1-line block ×4, first 2 shown]
	s_waitcnt lgkmcnt(0)
	s_barrier
	ds_write2_b32 v64, v23, v21 offset1:4
	v_sub_f32_e32 v21, v50, v27
	v_fma_f32 v23, v50, 2.0, -v21
	ds_write2_b32 v65, v23, v21 offset1:4
	v_sub_f32_e32 v21, v56, v33
	v_fma_f32 v23, v56, 2.0, -v21
	;; [unrolled: 3-line block ×6, first 2 shown]
	v_sub_f32_e32 v27, v62, v55
	v_sub_f32_e32 v33, v63, v51
	v_fma_f32 v29, v62, 2.0, -v27
	v_fma_f32 v35, v63, 2.0, -v33
	ds_write2_b32 v66, v23, v21 offset1:4
	ds_write2_b32 v67, v29, v27 offset1:4
	;; [unrolled: 1-line block ×3, first 2 shown]
	v_and_b32_e32 v19, 7, v78
	v_lshlrev_b32_e32 v21, 3, v19
	s_waitcnt lgkmcnt(0)
	s_barrier
	global_load_dwordx2 v[50:51], v21, s[4:5] offset:48
	ds_read2_b32 v[52:53], v38 offset0:112 offset1:224
	ds_read2_b32 v[54:55], v10 offset0:80 offset1:192
	ds_read_b32 v57, v30
	s_movk_i32 s0, 0xf0
	s_movk_i32 s1, 0x5f0
	s_waitcnt vmcnt(0) lgkmcnt(2)
	v_mul_f32_e32 v21, v52, v51
	v_mul_f32_e32 v27, v53, v51
	v_fma_f32 v21, v40, v50, -v21
	v_mul_f32_e32 v23, v40, v51
	v_fma_f32 v27, v41, v50, -v27
	v_mul_f32_e32 v29, v41, v51
	ds_read2_b32 v[40:41], v22 offset0:48 offset1:160
	s_waitcnt lgkmcnt(2)
	v_mul_f32_e32 v33, v54, v51
	v_fma_f32 v33, v44, v50, -v33
	v_mul_f32_e32 v35, v44, v51
	v_mul_f32_e32 v37, v55, v51
	s_waitcnt lgkmcnt(0)
	v_mul_f32_e32 v43, v40, v51
	v_mul_f32_e32 v44, v41, v51
	v_fmac_f32_e32 v23, v52, v50
	v_fmac_f32_e32 v29, v53, v50
	v_fma_f32 v37, v45, v50, -v37
	v_mul_f32_e32 v39, v45, v51
	v_fma_f32 v43, v46, v50, -v43
	v_fma_f32 v52, v47, v50, -v44
	ds_read2_b32 v[44:45], v26 offset0:16 offset1:128
	v_mul_f32_e32 v53, v46, v51
	ds_read_b32 v46, v24 offset:7616
	v_fmac_f32_e32 v35, v54, v50
	v_fmac_f32_e32 v39, v55, v50
	v_mul_f32_e32 v54, v47, v51
	v_mul_f32_e32 v55, v48, v51
	v_fmac_f32_e32 v53, v40, v50
	v_fmac_f32_e32 v54, v41, v50
	s_waitcnt lgkmcnt(1)
	v_mul_f32_e32 v40, v44, v51
	v_mul_f32_e32 v41, v45, v51
	;; [unrolled: 1-line block ×3, first 2 shown]
	v_fmac_f32_e32 v55, v44, v50
	s_waitcnt lgkmcnt(0)
	v_mul_f32_e32 v44, v46, v51
	v_mul_f32_e32 v51, v76, v51
	v_fmac_f32_e32 v51, v46, v50
	v_sub_f32_e32 v21, v25, v21
	v_and_or_b32 v46, v6, s0, v19
	v_fma_f32 v25, v25, 2.0, -v21
	v_lshl_add_u32 v65, v46, 2, v2
	s_movk_i32 s0, 0x1f0
	v_fma_f32 v40, v48, v50, -v40
	v_fma_f32 v41, v49, v50, -v41
	v_fmac_f32_e32 v56, v45, v50
	v_fma_f32 v44, v76, v50, -v44
	ds_read_b32 v45, v28
	ds_read_b32 v50, v31
	;; [unrolled: 1-line block ×8, first 2 shown]
	s_waitcnt lgkmcnt(0)
	s_barrier
	ds_write2_b32 v65, v25, v21 offset1:8
	v_sub_f32_e32 v21, v68, v27
	v_and_or_b32 v27, v7, s0, v19
	v_fma_f32 v25, v68, 2.0, -v21
	v_lshl_add_u32 v27, v27, 2, v2
	s_movk_i32 s0, 0x3f0
	ds_write2_b32 v27, v25, v21 offset1:8
	v_sub_f32_e32 v21, v75, v33
	v_and_or_b32 v33, v11, s0, v19
	v_fma_f32 v25, v75, 2.0, -v21
	v_lshl_add_u32 v33, v33, 2, v2
	ds_write2_b32 v33, v25, v21 offset1:8
	v_sub_f32_e32 v21, v69, v37
	v_and_or_b32 v37, v16, s0, v19
	v_fma_f32 v25, v69, 2.0, -v21
	v_lshl_add_u32 v37, v37, 2, v2
	s_movk_i32 s0, 0x7f0
	ds_write2_b32 v37, v25, v21 offset1:8
	v_sub_f32_e32 v21, v70, v43
	v_and_or_b32 v43, v3, s0, v19
	v_fma_f32 v25, v70, 2.0, -v21
	v_lshl_add_u32 v43, v43, 2, v2
	ds_write2_b32 v43, v25, v21 offset1:8
	v_sub_f32_e32 v21, v71, v52
	v_and_or_b32 v46, v4, s1, v19
	v_fma_f32 v25, v71, 2.0, -v21
	v_lshl_add_u32 v52, v46, 2, v2
	;; [unrolled: 5-line block ×4, first 2 shown]
	ds_write2_b32 v67, v25, v21 offset1:8
	v_sub_f32_e32 v21, v45, v23
	v_sub_f32_e32 v25, v74, v44
	v_and_or_b32 v19, v17, s0, v19
	v_fma_f32 v23, v45, 2.0, -v21
	v_fma_f32 v40, v74, 2.0, -v25
	v_lshl_add_u32 v19, v19, 2, v2
	ds_write2_b32 v19, v40, v25 offset1:8
	s_waitcnt lgkmcnt(0)
	s_barrier
	ds_read_b32 v25, v28
	ds_read_b32 v68, v31
	;; [unrolled: 1-line block ×9, first 2 shown]
	ds_read_b32 v76, v24 offset:7616
	ds_read2_b32 v[40:41], v38 offset0:112 offset1:224
	ds_read2_b32 v[44:45], v10 offset0:80 offset1:192
	;; [unrolled: 1-line block ×4, first 2 shown]
	s_waitcnt lgkmcnt(0)
	s_barrier
	ds_write2_b32 v65, v23, v21 offset1:8
	v_sub_f32_e32 v21, v50, v29
	v_fma_f32 v23, v50, 2.0, -v21
	ds_write2_b32 v27, v23, v21 offset1:8
	v_sub_f32_e32 v21, v57, v35
	v_fma_f32 v23, v57, 2.0, -v21
	;; [unrolled: 3-line block ×6, first 2 shown]
	v_sub_f32_e32 v27, v63, v56
	v_sub_f32_e32 v33, v64, v51
	v_fma_f32 v29, v63, 2.0, -v27
	v_fma_f32 v35, v64, 2.0, -v33
	ds_write2_b32 v66, v23, v21 offset1:8
	ds_write2_b32 v67, v29, v27 offset1:8
	;; [unrolled: 1-line block ×3, first 2 shown]
	v_and_b32_e32 v19, 15, v78
	v_lshlrev_b32_e32 v21, 3, v19
	s_waitcnt lgkmcnt(0)
	s_barrier
	global_load_dwordx2 v[50:51], v21, s[4:5] offset:112
	ds_read2_b32 v[52:53], v38 offset0:112 offset1:224
	ds_read2_b32 v[54:55], v10 offset0:80 offset1:192
	s_movk_i32 s0, 0xe0
	v_and_or_b32 v6, v6, s0, v19
	v_lshl_add_u32 v6, v6, 2, v2
	s_movk_i32 s0, 0x1e0
	v_and_or_b32 v7, v7, s0, v19
	v_lshl_add_u32 v7, v7, 2, v2
	;; [unrolled: 3-line block ×3, first 2 shown]
	v_and_or_b32 v16, v16, s0, v19
	s_movk_i32 s0, 0x7e0
	v_and_or_b32 v3, v3, s0, v19
	v_lshl_add_u32 v3, v3, 2, v2
	s_movk_i32 s1, 0x5e0
	v_and_or_b32 v4, v4, s1, v19
	v_and_or_b32 v5, v5, s0, v19
	;; [unrolled: 1-line block ×3, first 2 shown]
	v_lshl_add_u32 v4, v4, 2, v2
	v_lshl_add_u32 v5, v5, 2, v2
	;; [unrolled: 1-line block ×3, first 2 shown]
	s_mov_b32 s1, 0xaaab
	s_waitcnt vmcnt(0) lgkmcnt(1)
	v_mul_f32_e32 v21, v52, v51
	v_mul_f32_e32 v27, v53, v51
	v_fma_f32 v21, v40, v50, -v21
	v_mul_f32_e32 v23, v40, v51
	v_fma_f32 v27, v41, v50, -v27
	v_mul_f32_e32 v29, v41, v51
	ds_read2_b32 v[40:41], v22 offset0:48 offset1:160
	s_waitcnt lgkmcnt(1)
	v_mul_f32_e32 v33, v54, v51
	v_fma_f32 v33, v44, v50, -v33
	v_mul_f32_e32 v35, v44, v51
	v_mul_f32_e32 v37, v55, v51
	s_waitcnt lgkmcnt(0)
	v_mul_f32_e32 v44, v41, v51
	v_fmac_f32_e32 v23, v52, v50
	v_fma_f32 v37, v45, v50, -v37
	v_mul_f32_e32 v39, v45, v51
	v_fma_f32 v52, v47, v50, -v44
	ds_read2_b32 v[44:45], v26 offset0:16 offset1:128
	v_fmac_f32_e32 v29, v53, v50
	ds_read_b32 v53, v24 offset:7616
	v_mul_f32_e32 v43, v40, v51
	v_fma_f32 v43, v46, v50, -v43
	v_mul_f32_e32 v46, v46, v51
	v_mul_f32_e32 v47, v47, v51
	v_fmac_f32_e32 v46, v40, v50
	v_fmac_f32_e32 v47, v41, v50
	s_waitcnt lgkmcnt(1)
	v_mul_f32_e32 v40, v44, v51
	v_mul_f32_e32 v41, v45, v51
	v_fma_f32 v40, v48, v50, -v40
	v_fma_f32 v41, v49, v50, -v41
	v_mul_f32_e32 v48, v48, v51
	v_mul_f32_e32 v49, v49, v51
	v_sub_f32_e32 v21, v25, v21
	v_fmac_f32_e32 v48, v44, v50
	ds_read_b32 v44, v30
	v_fmac_f32_e32 v49, v45, v50
	s_waitcnt lgkmcnt(1)
	v_mul_f32_e32 v45, v53, v51
	v_mul_f32_e32 v51, v76, v51
	v_fma_f32 v25, v25, 2.0, -v21
	v_fmac_f32_e32 v35, v54, v50
	v_fmac_f32_e32 v39, v55, v50
	v_fma_f32 v45, v76, v50, -v45
	v_fmac_f32_e32 v51, v53, v50
	ds_read_b32 v50, v28
	ds_read_b32 v53, v31
	;; [unrolled: 1-line block ×8, first 2 shown]
	s_waitcnt lgkmcnt(0)
	s_barrier
	ds_write2_b32 v6, v25, v21 offset1:16
	v_sub_f32_e32 v21, v68, v27
	v_fma_f32 v25, v68, 2.0, -v21
	ds_write2_b32 v7, v25, v21 offset1:16
	v_sub_f32_e32 v21, v75, v33
	v_fma_f32 v25, v75, 2.0, -v21
	;; [unrolled: 3-line block ×3, first 2 shown]
	v_lshl_add_u32 v27, v16, 2, v2
	v_sub_f32_e32 v16, v70, v43
	ds_write2_b32 v27, v25, v21 offset1:16
	v_fma_f32 v25, v70, 2.0, -v16
	v_sub_f32_e32 v21, v50, v23
	v_sub_f32_e32 v33, v71, v52
	;; [unrolled: 1-line block ×5, first 2 shown]
	ds_write2_b32 v3, v25, v16 offset1:16
	v_and_or_b32 v16, v17, s0, v19
	v_fma_f32 v23, v50, 2.0, -v21
	v_fma_f32 v37, v71, 2.0, -v33
	;; [unrolled: 1-line block ×5, first 2 shown]
	v_lshl_add_u32 v19, v16, 2, v2
	ds_write2_b32 v4, v37, v33 offset1:16
	ds_write2_b32 v5, v43, v40 offset1:16
	;; [unrolled: 1-line block ×4, first 2 shown]
	s_waitcnt lgkmcnt(0)
	s_barrier
	ds_read2_b32 v[16:17], v10 offset0:80 offset1:192
	ds_read_b32 v25, v36
	ds_read_b32 v33, v28
	;; [unrolled: 1-line block ×9, first 2 shown]
	ds_read_b32 v71, v24 offset:7616
	ds_read2_b32 v[40:41], v22 offset0:48 offset1:160
	ds_read2_b32 v[56:57], v38 offset0:112 offset1:224
	;; [unrolled: 1-line block ×3, first 2 shown]
	s_waitcnt lgkmcnt(0)
	s_barrier
	ds_write2_b32 v6, v23, v21 offset1:16
	v_sub_f32_e32 v6, v53, v29
	v_fma_f32 v21, v53, 2.0, -v6
	ds_write2_b32 v7, v21, v6 offset1:16
	v_sub_f32_e32 v6, v44, v35
	v_fma_f32 v7, v44, 2.0, -v6
	;; [unrolled: 3-line block ×3, first 2 shown]
	v_sub_f32_e32 v11, v55, v46
	v_sub_f32_e32 v23, v61, v47
	;; [unrolled: 1-line block ×5, first 2 shown]
	v_fma_f32 v21, v55, 2.0, -v11
	v_fma_f32 v29, v61, 2.0, -v23
	;; [unrolled: 1-line block ×5, first 2 shown]
	ds_write2_b32 v27, v7, v6 offset1:16
	ds_write2_b32 v3, v21, v11 offset1:16
	ds_write2_b32 v4, v29, v23 offset1:16
	ds_write2_b32 v5, v39, v35 offset1:16
	ds_write2_b32 v9, v45, v44 offset1:16
	ds_write2_b32 v19, v47, v46 offset1:16
	v_and_b32_e32 v3, 31, v60
	v_lshlrev_b32_e32 v4, 4, v3
	s_waitcnt lgkmcnt(0)
	s_barrier
	global_load_dwordx4 v[4:7], v4, s[4:5] offset:240
	v_and_b32_e32 v9, 31, v15
	v_lshlrev_b32_e32 v11, 4, v9
	global_load_dwordx4 v[44:47], v11, s[4:5] offset:240
	v_and_b32_e32 v11, 31, v78
	v_lshlrev_b32_e32 v19, 4, v11
	global_load_dwordx4 v[48:51], v19, s[4:5] offset:240
	v_and_b32_e32 v19, 31, v1
	v_lshlrev_b32_e32 v21, 4, v19
	global_load_dwordx4 v[52:55], v21, s[4:5] offset:240
	ds_read_b32 v21, v34
	ds_read2_b32 v[62:63], v22 offset0:48 offset1:160
	ds_read_b32 v23, v36
	ds_read2_b32 v[64:65], v38 offset0:112 offset1:224
	ds_read_b32 v27, v18
	s_movk_i32 s0, 0x60
	s_waitcnt vmcnt(3) lgkmcnt(4)
	v_mul_f32_e32 v29, v21, v5
	v_mul_f32_e32 v35, v67, v5
	v_fma_f32 v29, v67, v4, -v29
	v_fmac_f32_e32 v35, v21, v4
	s_waitcnt lgkmcnt(3)
	v_mul_f32_e32 v4, v62, v7
	v_fma_f32 v21, v40, v6, -v4
	ds_read2_b32 v[4:5], v26 offset0:16 offset1:128
	v_mul_f32_e32 v39, v40, v7
	v_fmac_f32_e32 v39, v62, v6
	s_waitcnt vmcnt(2) lgkmcnt(2)
	v_mul_f32_e32 v6, v64, v45
	v_fma_f32 v40, v56, v44, -v6
	s_waitcnt lgkmcnt(0)
	v_mul_f32_e32 v6, v4, v47
	v_mul_f32_e32 v47, v58, v47
	;; [unrolled: 1-line block ×3, first 2 shown]
	v_fmac_f32_e32 v47, v4, v46
	s_waitcnt vmcnt(1)
	v_mul_f32_e32 v4, v63, v51
	v_fmac_f32_e32 v45, v64, v44
	v_fma_f32 v44, v58, v46, -v6
	v_fma_f32 v46, v41, v50, -v4
	v_mul_f32_e32 v4, v65, v49
	v_fma_f32 v56, v57, v48, -v4
	v_mul_f32_e32 v4, v5, v51
	v_fma_f32 v61, v59, v50, -v4
	v_mul_f32_e32 v62, v59, v51
	v_mul_f32_e32 v4, v27, v49
	v_fmac_f32_e32 v62, v5, v50
	v_fma_f32 v6, v68, v48, -v4
	v_mul_f32_e32 v7, v68, v49
	ds_read2_b32 v[4:5], v10 offset0:80 offset1:192
	v_fmac_f32_e32 v7, v27, v48
	v_mul_f32_e32 v27, v23, v49
	v_mul_f32_e32 v41, v41, v51
	;; [unrolled: 1-line block ×3, first 2 shown]
	v_fma_f32 v27, v25, v48, -v27
	v_mul_f32_e32 v25, v25, v49
	v_fmac_f32_e32 v41, v63, v50
	v_fmac_f32_e32 v57, v65, v48
	ds_read_b32 v63, v8
	v_fmac_f32_e32 v25, v23, v48
	ds_read_b32 v48, v24 offset:7616
	s_waitcnt lgkmcnt(2)
	v_mul_f32_e32 v23, v5, v51
	v_fma_f32 v23, v17, v50, -v23
	v_mul_f32_e32 v17, v17, v51
	ds_read_b32 v51, v30
	v_fmac_f32_e32 v17, v5, v50
	s_waitcnt vmcnt(0)
	v_mul_f32_e32 v5, v4, v53
	v_mul_f32_e32 v50, v16, v53
	v_fma_f32 v49, v16, v52, -v5
	v_fmac_f32_e32 v50, v4, v52
	s_waitcnt lgkmcnt(1)
	v_mul_f32_e32 v4, v48, v55
	v_add_f32_e32 v5, v6, v23
	v_fma_f32 v64, v71, v54, -v4
	v_add_f32_e32 v4, v33, v6
	v_fmac_f32_e32 v33, -0.5, v5
	v_lshrrev_b32_e32 v5, 5, v78
	v_mul_u32_u24_e32 v5, 0x60, v5
	v_or_b32_e32 v5, v5, v11
	v_lshl_add_u32 v68, v5, 2, v2
	v_sub_f32_e32 v5, v7, v17
	v_mul_f32_e32 v55, v71, v55
	v_add_f32_e32 v4, v4, v23
	v_fmamk_f32 v16, v5, 0x3f5db3d7, v33
	v_fmac_f32_e32 v33, 0xbf5db3d7, v5
	v_add_f32_e32 v5, v29, v21
	v_fmac_f32_e32 v55, v48, v54
	ds_read_b32 v48, v28
	ds_read_b32 v54, v31
	;; [unrolled: 1-line block ×4, first 2 shown]
	s_waitcnt lgkmcnt(0)
	s_barrier
	ds_write2_b32 v68, v4, v16 offset1:32
	v_add_f32_e32 v4, v37, v29
	v_fmac_f32_e32 v37, -0.5, v5
	v_lshrrev_b32_e32 v5, 5, v60
	v_mul_lo_u32 v5, v5, s0
	v_or_b32_e32 v3, v5, v3
	v_sub_f32_e32 v5, v35, v39
	v_add_f32_e32 v4, v4, v21
	v_lshl_add_u32 v3, v3, 2, v2
	v_fmamk_f32 v16, v5, 0x3f5db3d7, v37
	v_fmac_f32_e32 v37, 0xbf5db3d7, v5
	v_add_f32_e32 v5, v27, v46
	ds_write_b32 v68, v33 offset:256
	ds_write2_b32 v3, v4, v16 offset1:32
	v_add_f32_e32 v4, v70, v27
	v_fmac_f32_e32 v70, -0.5, v5
	v_lshrrev_b32_e32 v5, 5, v14
	v_mul_lo_u32 v5, v5, s0
	v_or_b32_e32 v5, v5, v11
	v_lshl_add_u32 v33, v5, 2, v2
	v_sub_f32_e32 v5, v25, v41
	v_add_f32_e32 v4, v4, v46
	v_fmamk_f32 v16, v5, 0x3f5db3d7, v70
	v_fmac_f32_e32 v70, 0xbf5db3d7, v5
	v_add_f32_e32 v5, v40, v44
	ds_write_b32 v3, v37 offset:256
	ds_write2_b32 v33, v4, v16 offset1:32
	v_add_f32_e32 v4, v43, v40
	v_fmac_f32_e32 v43, -0.5, v5
	v_lshrrev_b32_e32 v5, 5, v15
	v_mul_lo_u32 v5, v5, s0
	v_or_b32_e32 v5, v5, v9
	v_lshl_add_u32 v9, v5, 2, v2
	v_sub_f32_e32 v5, v45, v47
	v_add_f32_e32 v4, v4, v44
	v_fmamk_f32 v16, v5, 0x3f5db3d7, v43
	ds_write_b32 v33, v70 offset:256
	ds_write2_b32 v9, v4, v16 offset1:32
	v_add_f32_e32 v4, v48, v7
	v_add_f32_e32 v37, v4, v17
	;; [unrolled: 1-line block ×3, first 2 shown]
	v_fmac_f32_e32 v43, 0xbf5db3d7, v5
	v_add_f32_e32 v5, v56, v61
	v_fmac_f32_e32 v48, -0.5, v4
	v_add_f32_e32 v4, v66, v56
	v_fmac_f32_e32 v66, -0.5, v5
	v_sub_f32_e32 v5, v57, v62
	v_sub_f32_e32 v17, v6, v23
	v_fmamk_f32 v6, v5, 0x3f5db3d7, v66
	v_fmac_f32_e32 v66, 0xbf5db3d7, v5
	v_lshrrev_b32_e32 v5, 5, v0
	v_mul_lo_u32 v5, v5, s0
	v_or_b32_e32 v5, v5, v11
	v_add_f32_e32 v4, v4, v61
	v_lshl_add_u32 v11, v5, 2, v2
	v_add_f32_e32 v5, v49, v64
	ds_write_b32 v9, v43 offset:256
	ds_write2_b32 v11, v4, v6 offset1:32
	v_add_f32_e32 v4, v69, v49
	v_fmac_f32_e32 v69, -0.5, v5
	v_sub_f32_e32 v5, v50, v55
	v_fmamk_f32 v6, v5, 0x3f5db3d7, v69
	v_fmac_f32_e32 v69, 0xbf5db3d7, v5
	v_lshrrev_b32_e32 v5, 5, v1
	ds_write_b32 v11, v66 offset:256
	v_mul_lo_u32 v5, v5, s0
	v_fmamk_f32 v66, v17, 0xbf5db3d7, v48
	v_fmac_f32_e32 v48, 0x3f5db3d7, v17
	v_add_f32_e32 v17, v54, v35
	v_add_f32_e32 v35, v35, v39
	v_or_b32_e32 v5, v5, v19
	v_fmac_f32_e32 v54, -0.5, v35
	v_sub_f32_e32 v21, v29, v21
	v_add_f32_e32 v4, v4, v64
	v_lshl_add_u32 v19, v5, 2, v2
	v_add_f32_e32 v17, v17, v39
	v_fmamk_f32 v29, v21, 0xbf5db3d7, v54
	v_fmac_f32_e32 v54, 0x3f5db3d7, v21
	v_add_f32_e32 v21, v25, v41
	ds_write2_b32 v19, v4, v6 offset1:32
	ds_write_b32 v19, v69 offset:256
	s_waitcnt lgkmcnt(0)
	s_barrier
	ds_read_b32 v23, v34
	ds_read_b32 v43, v36
	;; [unrolled: 1-line block ×3, first 2 shown]
	ds_read_b32 v71, v24 offset:7616
	ds_read2_b32 v[6:7], v10 offset0:80 offset1:192
	ds_read2_b32 v[4:5], v22 offset0:48 offset1:160
	;; [unrolled: 1-line block ×4, first 2 shown]
	ds_read_b32 v72, v28
	ds_read_b32 v73, v31
	ds_read_b32 v74, v32
	ds_read_b32 v16, v20
	ds_read_b32 v75, v18
	ds_read_b32 v2, v8
	s_waitcnt lgkmcnt(0)
	s_barrier
	ds_write2_b32 v68, v37, v66 offset1:32
	ds_write_b32 v68, v48 offset:256
	ds_write2_b32 v3, v17, v29 offset1:32
	v_add_f32_e32 v17, v51, v25
	v_fmac_f32_e32 v51, -0.5, v21
	v_sub_f32_e32 v21, v27, v46
	v_add_f32_e32 v27, v45, v47
	v_fmamk_f32 v25, v21, 0xbf5db3d7, v51
	v_fmac_f32_e32 v51, 0x3f5db3d7, v21
	v_add_f32_e32 v21, v65, v45
	v_fmac_f32_e32 v65, -0.5, v27
	v_sub_f32_e32 v27, v40, v44
	v_add_f32_e32 v35, v57, v62
	v_fmamk_f32 v29, v27, 0xbf5db3d7, v65
	v_fmac_f32_e32 v65, 0x3f5db3d7, v27
	;; [unrolled: 6-line block ×3, first 2 shown]
	v_add_f32_e32 v35, v63, v50
	v_fmac_f32_e32 v63, -0.5, v39
	v_sub_f32_e32 v39, v49, v64
	v_add_f32_e32 v17, v17, v41
	v_add_f32_e32 v21, v21, v47
	;; [unrolled: 1-line block ×4, first 2 shown]
	v_fmamk_f32 v40, v39, 0xbf5db3d7, v63
	v_fmac_f32_e32 v63, 0x3f5db3d7, v39
	ds_write_b32 v3, v54 offset:256
	ds_write2_b32 v33, v17, v25 offset1:32
	ds_write_b32 v33, v51 offset:256
	ds_write2_b32 v9, v21, v29 offset1:32
	;; [unrolled: 2-line block ×4, first 2 shown]
	ds_write_b32 v19, v63 offset:256
	v_mul_u32_u24_sdwa v3, v15, s1 dst_sel:DWORD dst_unused:UNUSED_PAD src0_sel:WORD_0 src1_sel:DWORD
	v_lshrrev_b32_e32 v21, 22, v3
	v_mul_lo_u16_e32 v3, 0x60, v21
	v_sub_u16_e32 v15, v15, v3
	v_lshlrev_b32_e32 v3, 4, v15
	s_waitcnt lgkmcnt(0)
	s_barrier
	global_load_dwordx4 v[44:47], v3, s[4:5] offset:752
	v_mul_u32_u24_sdwa v3, v0, s1 dst_sel:DWORD dst_unused:UNUSED_PAD src0_sel:WORD_0 src1_sel:DWORD
	v_lshrrev_b32_e32 v33, 22, v3
	v_mul_lo_u16_e32 v3, 0x60, v33
	v_sub_u16_e32 v76, v0, v3
	v_lshlrev_b32_e32 v0, 4, v76
	global_load_dwordx4 v[48:51], v0, s[4:5] offset:752
	ds_read2_b32 v[66:67], v38 offset0:112 offset1:224
	ds_read2_b32 v[68:69], v26 offset0:16 offset1:128
	v_mul_u32_u24_sdwa v0, v14, s1 dst_sel:DWORD dst_unused:UNUSED_PAD src0_sel:WORD_0 src1_sel:DWORD
	v_lshrrev_b32_e32 v77, 22, v0
	v_mul_lo_u16_e32 v0, 0x60, v77
	v_sub_u16_e32 v79, v14, v0
	v_lshlrev_b32_e32 v0, 4, v79
	global_load_dwordx4 v[38:41], v0, s[4:5] offset:752
	v_lshlrev_b32_e32 v15, 2, v15
	s_waitcnt vmcnt(2) lgkmcnt(0)
	v_mul_f32_e32 v3, v68, v47
	v_fma_f32 v25, v58, v46, -v3
	v_mul_u32_u24_sdwa v3, v1, s1 dst_sel:DWORD dst_unused:UNUSED_PAD src0_sel:WORD_0 src1_sel:DWORD
	s_movk_i32 s1, 0xab
	v_mul_lo_u16_sdwa v9, v60, s1 dst_sel:DWORD dst_unused:UNUSED_PAD src0_sel:BYTE_0 src1_sel:DWORD
	v_lshrrev_b16_e32 v80, 14, v9
	v_mul_lo_u16_e32 v9, 0x60, v80
	v_mul_f32_e32 v27, v58, v47
	v_lshrrev_b32_e32 v58, 22, v3
	v_sub_u16_e32 v81, v60, v9
	v_mov_b32_e32 v9, 4
	v_mul_lo_u16_e32 v3, 0x60, v58
	v_lshlrev_b32_sdwa v9, v9, v81 dst_sel:DWORD dst_unused:UNUSED_PAD src0_sel:DWORD src1_sel:BYTE_0
	global_load_dwordx4 v[54:57], v9, s[4:5] offset:752
	v_sub_u16_e32 v82, v1, v3
	v_lshlrev_b32_e32 v1, 4, v82
	global_load_dwordx4 v[62:65], v1, s[4:5] offset:752
	s_waitcnt vmcnt(3)
	v_mul_f32_e32 v1, v67, v49
	v_fma_f32 v29, v53, v48, -v1
	v_mul_f32_e32 v1, v69, v51
	v_fmac_f32_e32 v27, v68, v46
	v_fma_f32 v46, v59, v50, -v1
	v_add_u32_e32 v1, 0xffffffa0, v78
	v_cmp_gt_u32_e64 s[0:1], s0, v78
	v_mul_f32_e32 v0, v66, v45
	v_mul_f32_e32 v19, v52, v45
	v_cndmask_b32_e64 v17, v1, v78, s[0:1]
	v_fma_f32 v0, v52, v44, -v0
	v_fmac_f32_e32 v19, v66, v44
	v_mul_f32_e32 v35, v53, v49
	v_lshlrev_b32_e32 v44, 1, v17
	v_mov_b32_e32 v45, 0
	v_fmac_f32_e32 v35, v67, v48
	v_mul_f32_e32 v47, v59, v51
	v_lshl_add_u64 v[48:49], v[44:45], 3, s[4:5]
	v_fmac_f32_e32 v47, v69, v50
	global_load_dwordx4 v[66:69], v[48:49], off offset:752
	ds_read_b32 v1, v34
	ds_read_b32 v3, v36
	ds_read2_b32 v[36:37], v22 offset0:48 offset1:160
	ds_read_b32 v11, v18
	s_waitcnt vmcnt(3)
	v_mul_f32_e32 v51, v5, v41
	s_movk_i32 s0, 0x5f
	v_cmp_lt_u32_e64 s[0:1], s0, v78
	s_waitcnt lgkmcnt(1)
	v_fmac_f32_e32 v51, v37, v40
	s_waitcnt vmcnt(2)
	v_mul_f32_e32 v52, v23, v55
	v_mul_f32_e32 v9, v1, v55
	v_fmac_f32_e32 v52, v1, v54
	v_mul_f32_e32 v1, v36, v57
	v_fma_f32 v53, v4, v56, -v1
	v_mul_f32_e32 v1, v37, v41
	v_fma_f32 v48, v5, v40, -v1
	;; [unrolled: 2-line block ×3, first 2 shown]
	v_fma_f32 v50, v43, v38, -v1
	ds_read_b32 v1, v8
	ds_read2_b32 v[8:9], v10 offset0:80 offset1:192
	v_mul_f32_e32 v54, v43, v39
	v_mul_f32_e32 v55, v4, v57
	v_fmac_f32_e32 v54, v3, v38
	v_fmac_f32_e32 v55, v36, v56
	s_waitcnt vmcnt(1)
	v_mul_f32_e32 v5, v6, v63
	v_mul_f32_e32 v4, v6, v62
	s_waitcnt lgkmcnt(0)
	v_fmac_f32_e32 v5, v8, v62
	v_mul_f32_e32 v6, v8, v63
	ds_read_b32 v62, v30
	s_waitcnt vmcnt(0)
	v_mul_f32_e32 v3, v11, v67
	v_fma_f32 v56, v75, v66, -v3
	v_mul_f32_e32 v3, v9, v69
	v_fma_f32 v59, v7, v68, -v3
	ds_read_b32 v3, v24 offset:7616
	v_mul_f32_e32 v61, v7, v69
	v_mul_f32_e32 v7, v71, v65
	;; [unrolled: 1-line block ×3, first 2 shown]
	v_fmac_f32_e32 v57, v11, v66
	s_waitcnt lgkmcnt(0)
	v_fmac_f32_e32 v7, v3, v64
	v_mul_f32_e32 v3, v3, v65
	v_fma_f32 v8, v71, v64, -v3
	v_pk_add_f32 v[10:11], v[4:5], v[6:7] neg_lo:[0,1] neg_hi:[0,1]
	v_mov_b32_e32 v3, 0x3f5db3d7
	v_add_f32_e32 v4, v10, v8
	v_pk_add_f32 v[36:37], v[2:3], v[10:11]
	v_pk_mul_f32 v[38:39], v[2:3], v[10:11]
	v_fmac_f32_e32 v2, -0.5, v4
	v_add_f32_e32 v3, v56, v59
	v_fmac_f32_e32 v61, v9, v68
	v_add_f32_e32 v18, v39, v2
	v_mov_b32_e32 v9, v2
	v_add_f32_e32 v2, v72, v56
	v_fmac_f32_e32 v72, -0.5, v3
	v_mov_b32_e32 v3, 0x480
	v_cndmask_b32_e64 v3, 0, v3, s[0:1]
	v_add_u32_e32 v3, 0, v3
	v_lshlrev_b32_e32 v4, 2, v17
	v_add3_u32 v6, v3, v4, v42
	v_sub_f32_e32 v3, v57, v61
	v_add_f32_e32 v2, v2, v59
	ds_read_b32 v11, v28
	ds_read_b32 v17, v20
	;; [unrolled: 1-line block ×4, first 2 shown]
	v_fmamk_f32 v20, v3, 0x3f5db3d7, v72
	v_fmac_f32_e32 v72, 0xbf5db3d7, v3
	v_add_f32_e32 v3, v49, v53
	s_waitcnt lgkmcnt(0)
	s_barrier
	ds_write2_b32 v6, v2, v20 offset1:96
	v_add_f32_e32 v2, v73, v49
	v_fmac_f32_e32 v73, -0.5, v3
	v_mov_b32_e32 v3, 2
	s_movk_i32 s0, 0x480
	v_lshlrev_b32_sdwa v3, v3, v81 dst_sel:DWORD dst_unused:UNUSED_PAD src0_sel:DWORD src1_sel:BYTE_0
	v_mad_u32_u24 v20, v80, s0, 0
	v_add3_u32 v64, v20, v3, v42
	v_sub_f32_e32 v3, v52, v55
	v_add_f32_e32 v2, v2, v53
	v_fmamk_f32 v20, v3, 0x3f5db3d7, v73
	v_fmac_f32_e32 v73, 0xbf5db3d7, v3
	v_add_f32_e32 v3, v50, v48
	s_mov_b32 s1, 0x5040100
	ds_write_b32 v6, v72 offset:768
	ds_write2_b32 v64, v2, v20 offset1:96
	v_add_f32_e32 v2, v70, v50
	v_fmac_f32_e32 v70, -0.5, v3
	v_perm_b32 v3, v21, v77, s1
	v_pk_mul_lo_u16 v3, v3, s0 op_sel_hi:[1,0]
	v_lshlrev_b32_e32 v21, 2, v79
	v_and_b32_e32 v20, 0xff80, v3
	v_add_u32_e32 v20, 0, v20
	v_add3_u32 v65, v20, v21, v42
	v_sub_f32_e32 v20, v54, v51
	v_add_f32_e32 v2, v2, v48
	v_fmamk_f32 v21, v20, 0x3f5db3d7, v70
	v_fmac_f32_e32 v70, 0xbf5db3d7, v20
	v_add_f32_e32 v20, v0, v25
	v_add_u32_sdwa v3, v45, v3 dst_sel:DWORD dst_unused:UNUSED_PAD src0_sel:DWORD src1_sel:WORD_1
	ds_write_b32 v64, v73 offset:768
	ds_write2_b32 v65, v2, v21 offset1:96
	v_add_f32_e32 v2, v74, v0
	v_fmac_f32_e32 v74, -0.5, v20
	v_add3_u32 v66, v3, v15, v42
	v_sub_f32_e32 v3, v19, v27
	v_add_f32_e32 v2, v2, v25
	v_fmamk_f32 v15, v3, 0x3f5db3d7, v74
	v_fmac_f32_e32 v74, 0xbf5db3d7, v3
	v_add_f32_e32 v3, v29, v46
	ds_write_b32 v65, v70 offset:768
	ds_write2_b32 v66, v2, v15 offset1:96
	v_add_f32_e32 v2, v16, v29
	v_fmac_f32_e32 v16, -0.5, v3
	v_perm_b32 v3, v58, v33, s1
	v_pk_mul_lo_u16 v3, v3, s0 op_sel_hi:[1,0]
	v_lshlrev_b32_e32 v20, 2, v76
	v_and_b32_e32 v15, 0xff80, v3
	v_add_u32_e32 v15, 0, v15
	v_add3_u32 v67, v15, v20, v42
	v_sub_f32_e32 v15, v35, v47
	v_mov_b32_e32 v37, v39
	v_add_f32_e32 v2, v2, v46
	v_fmamk_f32 v20, v15, 0x3f5db3d7, v16
	ds_write_b32 v66, v74 offset:768
	ds_write2_b32 v67, v2, v20 offset1:96
	v_fmac_f32_e32 v16, 0xbf5db3d7, v15
	v_add_u32_sdwa v15, v45, v3 dst_sel:DWORD dst_unused:UNUSED_PAD src0_sel:DWORD src1_sel:WORD_1
	v_pk_add_f32 v[2:3], v[8:9], v[36:37] neg_lo:[0,1] neg_hi:[0,1]
	v_pk_add_f32 v[20:21], v[8:9], v[36:37]
	v_lshlrev_b32_e32 v2, 2, v82
	v_add3_u32 v2, v15, v2, v42
	v_add_u32_e32 v9, 0x400, v24
	ds_write_b32 v67, v16 offset:768
	ds_write2_b32 v2, v20, v18 offset1:96
	ds_write_b32 v2, v3 offset:768
	s_waitcnt lgkmcnt(0)
	s_barrier
	ds_read2_b32 v[32:33], v9 offset0:32 offset1:144
	v_add_u32_e32 v9, 0x800, v24
	ds_read2_b32 v[42:43], v9 offset0:64 offset1:176
	v_add_u32_e32 v9, 0xc00, v24
	;; [unrolled: 2-line block ×3, first 2 shown]
	ds_read2_b32 v[36:37], v9 offset0:128 offset1:240
	ds_read2_b32 v[44:45], v22 offset0:32 offset1:144
	;; [unrolled: 1-line block ×3, first 2 shown]
	ds_read_b32 v58, v28
	ds_read_b32 v34, v31
	v_cmp_gt_u32_e64 s[0:1], 64, v78
	s_and_saveexec_b64 s[6:7], s[2:3]
	s_xor_b64 s[6:7], exec, s[6:7]
; %bb.14:
	v_mov_b32_e32 v21, v3
; %bb.15:
	s_or_saveexec_b64 s[6:7], s[6:7]
                                        ; implicit-def: $vgpr15
                                        ; implicit-def: $vgpr22
	s_xor_b64 exec, exec, s[6:7]
	s_cbranch_execz .LBB0_17
; %bb.16:
	ds_read_b32 v16, v30
	ds_read_b32 v20, v24 offset:2048
	ds_read_b32 v18, v24 offset:3200
	;; [unrolled: 1-line block ×6, first 2 shown]
.LBB0_17:
	s_or_b64 exec, exec, s[6:7]
	v_add_f32_e32 v9, v57, v61
	v_add_f32_e32 v3, v11, v57
	v_fmac_f32_e32 v11, -0.5, v9
	v_sub_f32_e32 v9, v56, v59
	v_fmamk_f32 v56, v9, 0xbf5db3d7, v11
	v_fmac_f32_e32 v11, 0x3f5db3d7, v9
	v_add_f32_e32 v9, v63, v52
	v_add_f32_e32 v57, v9, v55
	v_add_f32_e32 v9, v52, v55
	v_fmac_f32_e32 v63, -0.5, v9
	v_sub_f32_e32 v9, v49, v53
	v_fmamk_f32 v49, v9, 0xbf5db3d7, v63
	v_fmac_f32_e32 v63, 0x3f5db3d7, v9
	v_add_f32_e32 v9, v62, v54
	;; [unrolled: 7-line block ×5, first 2 shown]
	v_add_f32_e32 v5, v5, v7
	v_fmac_f32_e32 v1, -0.5, v5
	v_sub_f32_e32 v5, v10, v8
	v_mul_f32_e32 v9, 0x3f5db3d7, v5
	v_mov_b32_e32 v8, v7
	v_add_f32_e32 v3, v3, v61
	v_mov_b32_e32 v25, v1
	v_pk_add_f32 v[26:27], v[0:1], v[8:9]
	v_add_u32_e32 v0, 0x400, v24
	v_fmac_f32_e32 v25, 0xbf5db3d7, v5
	s_waitcnt lgkmcnt(0)
	s_barrier
	ds_write2_b32 v6, v3, v56 offset1:96
	ds_write_b32 v6, v11 offset:768
	ds_write2_b32 v64, v57, v49 offset1:96
	ds_write_b32 v64, v63 offset:768
	;; [unrolled: 2-line block ×6, first 2 shown]
	s_waitcnt lgkmcnt(0)
	s_barrier
	ds_read2_b32 v[46:47], v0 offset0:32 offset1:144
	v_add_u32_e32 v0, 0x800, v24
	ds_read2_b32 v[54:55], v0 offset0:64 offset1:176
	v_add_u32_e32 v0, 0xc00, v24
	;; [unrolled: 2-line block ×5, first 2 shown]
	ds_read2_b32 v[52:53], v0 offset0:64 offset1:176
	ds_read_b32 v59, v28
	ds_read_b32 v35, v31
	s_and_saveexec_b64 s[6:7], s[2:3]
	s_xor_b64 s[2:3], exec, s[6:7]
                                        ; implicit-def: $vgpr29
; %bb.18:
                                        ; implicit-def: $vgpr30
                                        ; implicit-def: $vgpr24
; %bb.19:
	s_or_saveexec_b64 s[2:3], s[2:3]
                                        ; implicit-def: $vgpr31
                                        ; implicit-def: $vgpr28
	s_xor_b64 exec, exec, s[2:3]
	s_cbranch_execz .LBB0_21
; %bb.20:
	ds_read_b32 v17, v30
	ds_read_b32 v26, v24 offset:2048
	ds_read_b32 v25, v24 offset:3200
	;; [unrolled: 1-line block ×6, first 2 shown]
	s_or_b64 exec, exec, s[2:3]
	s_and_saveexec_b64 s[2:3], vcc
	s_cbranch_execz .LBB0_24
	s_branch .LBB0_22
.LBB0_21:
	s_or_b64 exec, exec, s[2:3]
	s_and_saveexec_b64 s[2:3], vcc
	s_cbranch_execz .LBB0_24
.LBB0_22:
	v_mul_u32_u24_e32 v0, 6, v78
	v_lshlrev_b32_e32 v19, 3, v0
	global_load_dwordx4 v[8:11], v19, s[4:5] offset:2320
	global_load_dwordx4 v[4:7], v19, s[4:5] offset:2304
	;; [unrolled: 1-line block ×3, first 2 shown]
	v_mad_u64_u32 v[62:63], s[2:3], s8, v78, 0
	v_add_u32_e32 v19, 0x120, v78
	v_mov_b32_e32 v24, v63
	v_mad_u64_u32 v[82:83], s[2:3], s8, v19, 0
	s_waitcnt lgkmcnt(3)
	v_mov_b32_e32 v70, v56
	v_mov_b32_e32 v71, v50
	v_mad_u64_u32 v[86:87], s[2:3], s9, v78, v[24:25]
	v_mov_b32_e32 v24, v83
	v_mov_b32_e32 v68, v44
	;; [unrolled: 1-line block ×4, first 2 shown]
	s_waitcnt lgkmcnt(2)
	v_mov_b32_e32 v75, v52
	v_mov_b32_e32 v63, v86
	v_mad_u64_u32 v[86:87], s[2:3], s9, v19, v[24:25]
	v_mov_b32_e32 v72, v40
	v_mov_b32_e32 v73, v38
	;; [unrolled: 1-line block ×11, first 2 shown]
	s_mov_b32 s2, 0x3f4a47b2
	s_mov_b32 s3, 0x3d64c772
	v_lshl_add_u64 v[62:63], v[62:63], 3, v[12:13]
	s_mov_b32 s10, s3
	s_mov_b32 s11, s2
	s_mov_b32 s20, 0x3f955555
	s_mov_b32 s12, 0x3eae86e6
	s_mov_b32 s13, 0xbf08b237
	s_mov_b32 s14, s13
	s_mov_b32 s15, s12
	s_mov_b32 s6, 0x3ee1c552
	v_add_u32_e32 v30, 0x240, v78
	v_lshl_add_u64 v[82:83], v[82:83], 3, v[12:13]
	v_mul_i32_i24_e32 v60, 6, v60
	v_mov_b32_e32 v61, 0
	v_lshl_add_u64 v[84:85], v[60:61], 3, s[4:5]
	s_mov_b32 s18, 0x3f5ff5aa
	v_mov_b32_e32 v50, v57
	v_mov_b32_e32 v48, v55
	;; [unrolled: 1-line block ×3, first 2 shown]
	s_waitcnt vmcnt(2)
	v_mov_b32_e32 v88, v9
	s_waitcnt vmcnt(1)
	v_mov_b32_e32 v89, v4
	v_mul_f32_e32 v19, v52, v11
	v_mov_b32_e32 v90, v8
	v_mov_b32_e32 v91, v5
	v_pk_mul_f32 v[70:71], v[70:71], v[88:89]
	v_mov_b32_e32 v89, v10
	v_mov_b32_e32 v88, v5
	v_pk_fma_f32 v[68:69], v[68:69], v[90:91], v[70:71]
	v_fma_f32 v91, v38, v10, -v19
	v_mov_b32_e32 v10, v4
	v_pk_mul_f32 v[74:75], v[74:75], v[88:89]
	v_mul_f32_e32 v86, v44, v9
	v_mov_b32_e32 v93, v6
	v_pk_fma_f32 v[10:11], v[72:73], v[10:11], v[74:75]
	v_mov_b32_e32 v72, v7
	s_waitcnt vmcnt(0)
	v_mov_b32_e32 v92, v3
	v_mov_b32_e32 v73, v0
	v_fmac_f32_e32 v86, v56, v8
	v_pk_fma_f32 v[8:9], v[44:45], v[8:9], v[70:71] neg_lo:[0,0,1] neg_hi:[0,0,1]
	v_mov_b32_e32 v71, v7
	v_mov_b32_e32 v88, v6
	v_pk_mul_f32 v[66:67], v[66:67], v[92:93]
	v_pk_mul_f32 v[72:73], v[80:81], v[72:73]
	v_mul_f32_e32 v80, v42, v3
	v_mov_b32_e32 v70, v2
	v_mov_b32_e32 v89, v1
	v_pk_fma_f32 v[74:75], v[40:41], v[4:5], v[74:75] neg_lo:[0,0,1] neg_hi:[0,0,1]
	v_mul_f32_e32 v9, v46, v1
	v_fmac_f32_e32 v80, v54, v2
	v_pk_fma_f32 v[64:65], v[64:65], v[70:71], v[66:67]
	v_pk_fma_f32 v[2:3], v[42:43], v[2:3], v[66:67] neg_lo:[0,0,1] neg_hi:[0,0,1]
	v_pk_fma_f32 v[92:93], v[76:77], v[88:89], v[72:73] neg_lo:[0,0,1] neg_hi:[0,0,1]
	v_pk_fma_f32 v[72:73], v[76:77], v[88:89], v[72:73]
	v_fma_f32 v1, v32, v0, -v9
	v_mov_b32_e32 v9, v69
	v_mov_b32_e32 v3, v65
	;; [unrolled: 1-line block ×4, first 2 shown]
	v_add_f32_e32 v71, v80, v86
	v_add_f32_e32 v66, v1, v91
	v_pk_add_f32 v[76:77], v[2:3], v[8:9] neg_lo:[0,1] neg_hi:[0,1]
	v_pk_add_f32 v[88:89], v[92:93], v[74:75]
	v_pk_add_f32 v[8:9], v[2:3], v[8:9]
	v_mov_b32_e32 v10, v11
	v_mov_b32_e32 v11, v74
	;; [unrolled: 1-line block ×4, first 2 shown]
	v_add_f32_e32 v3, v89, v71
	v_add_f32_e32 v92, v66, v8
	v_mov_b32_e32 v93, v9
	v_mov_b32_e32 v2, v88
	v_mov_b32_e32 v67, v9
	v_mov_b32_e32 v70, v88
	v_mov_b32_e32 v87, v11
	v_pk_add_f32 v[10:11], v[0:1], v[10:11] neg_lo:[0,1] neg_hi:[0,1]
	v_mov_b32_e32 v0, v65
	v_mov_b32_e32 v90, v69
	v_pk_add_f32 v[2:3], v[92:93], v[2:3]
	v_pk_add_f32 v[74:75], v[66:67], v[70:71] neg_lo:[0,1] neg_hi:[0,1]
	v_pk_add_f32 v[80:81], v[80:81], v[86:87] neg_lo:[0,1] neg_hi:[0,1]
	v_pk_add_f32 v[86:87], v[88:89], v[8:9] neg_lo:[0,1] neg_hi:[0,1]
	v_mov_b32_e32 v9, v76
	v_pk_add_f32 v[64:65], v[0:1], v[90:91] neg_lo:[0,1] neg_hi:[0,1]
	v_pk_mul_f32 v[74:75], v[74:75], s[2:3]
	v_pk_add_f32 v[72:73], v[80:81], v[8:9]
	s_waitcnt lgkmcnt(1)
	v_pk_add_f32 v[58:59], v[58:59], v[2:3]
	v_mov_b32_e32 v0, v10
	v_mov_b32_e32 v1, v81
	;; [unrolled: 1-line block ×5, first 2 shown]
	v_pk_fma_f32 v[72:73], v[86:87], s[10:11], v[74:75]
	v_pk_fma_f32 v[92:93], v[2:3], s[20:21], v[58:59] op_sel_hi:[1,0,1] neg_lo:[1,0,0] neg_hi:[1,0,0]
	v_pk_add_f32 v[0:1], v[0:1], v[68:69] neg_lo:[0,1] neg_hi:[0,1]
	global_store_dwordx2 v[62:63], v[58:59], off
	v_pk_add_f32 v[58:59], v[64:65], v[80:81]
	v_pk_add_f32 v[2:3], v[72:73], v[92:93]
	v_pk_mul_f32 v[68:69], v[0:1], s[12:13]
	v_pk_add_f32 v[72:73], v[64:65], v[80:81] neg_lo:[0,1] neg_hi:[0,1]
	v_mov_b32_e32 v59, v65
	v_pk_fma_f32 v[0:1], v[72:73], s[14:15], v[68:69]
	v_pk_add_f32 v[58:59], v[58:59], v[10:11]
	v_add_u32_e32 v19, 0x360, v78
	v_pk_fma_f32 v[0:1], v[58:59], s[6:7], v[0:1] op_sel_hi:[1,0,1]
	v_mad_u64_u32 v[94:95], s[16:17], s8, v19, 0
	v_pk_add_f32 v[62:63], v[2:3], v[0:1] neg_lo:[0,1] neg_hi:[0,1]
	v_pk_add_f32 v[90:91], v[2:3], v[0:1]
	v_mov_b32_e32 v1, v63
	v_mov_b32_e32 v0, v90
	global_store_dwordx2 v[82:83], v[0:1], off
	v_mad_u64_u32 v[82:83], s[16:17], s8, v30, 0
	v_mov_b32_e32 v0, v83
	v_mad_u64_u32 v[0:1], s[16:17], s9, v30, v[0:1]
	v_mov_b32_e32 v83, v0
	v_mov_b32_e32 v0, v95
	v_mad_u64_u32 v[0:1], s[16:17], s9, v19, v[0:1]
	v_or_b32_e32 v1, 0x480, v78
	v_mad_u64_u32 v[96:97], s[16:17], s8, v1, 0
	v_mov_b32_e32 v95, v0
	v_mov_b32_e32 v0, v97
	v_mad_u64_u32 v[0:1], s[16:17], s9, v1, v[0:1]
	v_mov_b32_e32 v97, v0
	global_load_dwordx4 v[0:3], v[84:85], off offset:2288
	global_load_dwordx4 v[4:7], v[84:85], off offset:2320
	v_mov_b32_e32 v9, v71
	v_mov_b32_e32 v67, v89
	v_pk_mul_f32 v[70:71], v[86:87], s[10:11]
	v_pk_mul_f32 v[72:73], v[72:73], s[14:15]
	v_mov_b32_e32 v81, v76
	v_mov_b32_e32 v11, v65
	v_pk_add_f32 v[66:67], v[8:9], v[66:67] neg_lo:[0,1] neg_hi:[0,1]
	v_mov_b32_e32 v76, v74
	v_mov_b32_e32 v77, v71
	s_mov_b32 s16, 0x3f3bfb3b
	v_pk_add_f32 v[10:11], v[80:81], v[10:11] neg_lo:[0,1] neg_hi:[0,1]
	v_mov_b32_e32 v64, v68
	v_mov_b32_e32 v65, v73
	v_pk_fma_f32 v[76:77], v[66:67], s[16:17], v[76:77] op_sel_hi:[1,0,1] neg_lo:[1,0,1] neg_hi:[1,0,1]
	v_pk_fma_f32 v[64:65], v[10:11], s[18:19], v[64:65] op_sel_hi:[1,0,1] neg_lo:[1,0,1] neg_hi:[1,0,1]
	v_pk_add_f32 v[76:77], v[76:77], v[92:93]
	v_pk_fma_f32 v[64:65], v[58:59], s[6:7], v[64:65] op_sel_hi:[1,0,1]
	v_lshl_add_u64 v[8:9], v[82:83], 3, v[12:13]
	v_pk_add_f32 v[80:81], v[76:77], v[64:65] neg_lo:[0,1] neg_hi:[0,1]
	v_pk_add_f32 v[64:65], v[76:77], v[64:65]
	v_add_u32_e32 v19, 0x5a0, v78
	v_mov_b32_e32 v76, v64
	v_mov_b32_e32 v77, v81
	global_store_dwordx2 v[8:9], v[76:77], off
	v_mad_u64_u32 v[76:77], s[22:23], s8, v19, 0
	v_mov_b32_e32 v8, v77
	v_mad_u64_u32 v[8:9], s[22:23], s9, v19, v[8:9]
	v_mov_b32_e32 v73, v69
	v_mov_b32_e32 v77, v8
	v_pk_fma_f32 v[68:69], v[10:11], s[18:19], v[72:73] op_sel_hi:[1,0,1] neg_lo:[0,0,1] neg_hi:[0,0,1]
	global_load_dwordx4 v[8:11], v[84:85], off offset:2304
	v_mov_b32_e32 v71, v75
	v_pk_fma_f32 v[66:67], v[66:67], s[16:17], v[70:71] op_sel_hi:[1,0,1] neg_lo:[0,0,1] neg_hi:[0,0,1]
	v_pk_fma_f32 v[58:59], v[58:59], s[6:7], v[68:69] op_sel_hi:[1,0,1]
	v_pk_add_f32 v[66:67], v[66:67], v[92:93]
	v_lshl_add_u64 v[70:71], v[94:95], 3, v[12:13]
	v_pk_add_f32 v[74:75], v[66:67], v[58:59]
	v_pk_add_f32 v[58:59], v[66:67], v[58:59] neg_lo:[0,1] neg_hi:[0,1]
	v_mov_b32_e32 v67, v75
	v_mov_b32_e32 v66, v58
	global_store_dwordx2 v[70:71], v[66:67], off
	v_mov_b32_e32 v75, v59
	v_lshl_add_u64 v[76:77], v[76:77], 3, v[12:13]
	v_mov_b32_e32 v81, v65
	v_mov_b32_e32 v63, v91
	;; [unrolled: 1-line block ×7, first 2 shown]
	s_waitcnt vmcnt(4)
	v_mul_f32_e32 v19, v47, v1
	v_fma_f32 v69, v33, v0, -v19
	s_waitcnt vmcnt(3)
	v_mul_f32_e32 v19, v53, v7
	v_fma_f32 v73, v39, v6, -v19
	v_add_u32_e32 v19, 0x6c0, v78
	v_mad_u64_u32 v[66:67], s[22:23], s8, v19, 0
	v_mov_b32_e32 v24, v67
	v_mad_u64_u32 v[70:71], s[22:23], s9, v19, v[24:25]
	v_add_u32_e32 v19, 0x70, v78
	v_mov_b32_e32 v67, v70
	v_mad_u64_u32 v[58:59], s[22:23], s8, v19, 0
	v_lshl_add_u64 v[70:71], v[96:97], 3, v[12:13]
	v_lshl_add_u64 v[66:67], v[66:67], 3, v[12:13]
	v_mov_b32_e32 v24, v59
	global_store_dwordx2 v[70:71], v[74:75], off
	global_store_dwordx2 v[76:77], v[80:81], off
	;; [unrolled: 1-line block ×3, first 2 shown]
	v_mad_u64_u32 v[62:63], s[22:23], s9, v19, v[24:25]
	v_add_u32_e32 v19, 0x190, v78
	v_mov_b32_e32 v59, v62
	v_mad_u64_u32 v[62:63], s[22:23], s8, v19, 0
	v_mov_b32_e32 v24, v63
	v_mad_u64_u32 v[64:65], s[22:23], s9, v19, v[24:25]
	v_add_u32_e32 v19, 0x2b0, v78
	v_mov_b32_e32 v63, v64
	v_mad_u64_u32 v[64:65], s[22:23], s8, v19, 0
	v_mov_b32_e32 v24, v65
	;; [unrolled: 5-line block ×5, first 2 shown]
	v_mad_u64_u32 v[76:77], s[22:23], s9, v19, v[24:25]
	v_add_u32_e32 v19, 0x730, v78
	v_mul_f32_e32 v42, v45, v5
	v_mov_b32_e32 v75, v76
	v_mad_u64_u32 v[76:77], s[22:23], s8, v19, 0
	v_fmac_f32_e32 v42, v57, v4
	v_mul_f32_e32 v44, v43, v3
	v_mov_b32_e32 v24, v77
	v_mov_b32_e32 v56, v5
	s_waitcnt vmcnt(4)
	v_mov_b32_e32 v57, v8
	v_fmac_f32_e32 v44, v55, v2
	v_mad_u64_u32 v[80:81], s[22:23], s9, v19, v[24:25]
	v_mov_b32_e32 v24, v45
	v_pk_mul_f32 v[56:57], v[50:51], v[56:57]
	v_mov_b32_e32 v54, v3
	v_mov_b32_e32 v55, v10
	v_mov_b32_e32 v82, v4
	v_mov_b32_e32 v83, v9
	v_pk_fma_f32 v[4:5], v[24:25], v[4:5], v[56:57] neg_lo:[0,0,1] neg_hi:[0,0,1]
	v_mov_b32_e32 v24, v43
	v_pk_mul_f32 v[54:55], v[48:49], v[54:55]
	v_mov_b32_e32 v51, v6
	v_mov_b32_e32 v50, v9
	v_pk_fma_f32 v[56:57], v[40:41], v[82:83], v[56:57]
	v_mov_b32_e32 v82, v2
	v_pk_fma_f32 v[2:3], v[24:25], v[2:3], v[54:55] neg_lo:[0,0,1] neg_hi:[0,0,1]
	v_mov_b32_e32 v24, v41
	v_mov_b32_e32 v6, v8
	v_pk_mul_f32 v[40:41], v[52:53], v[50:51]
	v_mov_b32_e32 v83, v11
	v_pk_fma_f32 v[6:7], v[38:39], v[6:7], v[40:41]
	v_mov_b32_e32 v38, v10
	v_mov_b32_e32 v10, v11
	;; [unrolled: 1-line block ×3, first 2 shown]
	v_pk_fma_f32 v[54:55], v[36:37], v[82:83], v[54:55]
	v_mov_b32_e32 v39, v1
	v_pk_mul_f32 v[0:1], v[46:47], v[10:11]
	v_mov_b32_e32 v5, v57
	v_mov_b32_e32 v3, v55
	v_pk_fma_f32 v[8:9], v[24:25], v[8:9], v[40:41] neg_lo:[0,0,1] neg_hi:[0,0,1]
	v_pk_fma_f32 v[10:11], v[32:33], v[38:39], v[0:1] neg_lo:[0,0,1] neg_hi:[0,0,1]
	v_pk_fma_f32 v[0:1], v[32:33], v[38:39], v[0:1]
	v_pk_add_f32 v[82:83], v[2:3], v[4:5] neg_lo:[0,1] neg_hi:[0,1]
	v_mov_b32_e32 v9, v7
	v_mov_b32_e32 v11, v1
	;; [unrolled: 1-line block ×4, first 2 shown]
	v_pk_add_f32 v[32:33], v[10:11], v[8:9]
	v_mov_b32_e32 v6, v7
	v_mov_b32_e32 v7, v8
	v_pk_add_f32 v[8:9], v[44:45], v[42:43] neg_lo:[0,1] neg_hi:[0,1]
	v_mov_b32_e32 v0, v1
	v_mov_b32_e32 v1, v82
	v_pk_add_f32 v[6:7], v[0:1], v[6:7] neg_lo:[0,1] neg_hi:[0,1]
	v_pk_add_f32 v[0:1], v[8:9], v[0:1]
	v_mov_b32_e32 v68, v55
	v_mov_b32_e32 v72, v57
	v_add_f32_e32 v81, v44, v42
	v_add_f32_e32 v36, v69, v73
	v_pk_add_f32 v[2:3], v[2:3], v[4:5]
	v_mov_b32_e32 v7, v1
	v_pk_add_f32 v[0:1], v[68:69], v[72:73] neg_lo:[0,1] neg_hi:[0,1]
	v_mov_b32_e32 v77, v80
	v_add_f32_e32 v39, v33, v81
	v_mov_b32_e32 v37, v3
	v_mov_b32_e32 v80, v32
	v_add_f32_e32 v48, v36, v2
	v_mov_b32_e32 v49, v3
	v_mov_b32_e32 v38, v32
	;; [unrolled: 1-line block ×6, first 2 shown]
	v_pk_add_f32 v[4:5], v[36:37], v[80:81] neg_lo:[0,1] neg_hi:[0,1]
	v_pk_add_f32 v[38:39], v[48:49], v[38:39]
	v_pk_add_f32 v[10:11], v[10:11], v[42:43] neg_lo:[0,1] neg_hi:[0,1]
	v_pk_add_f32 v[48:49], v[0:1], v[8:9]
	v_pk_mul_f32 v[4:5], v[4:5], s[2:3]
	v_pk_add_f32 v[40:41], v[32:33], v[2:3] neg_lo:[0,1] neg_hi:[0,1]
	s_waitcnt lgkmcnt(0)
	v_pk_add_f32 v[34:35], v[34:35], v[38:39]
	v_pk_mul_f32 v[10:11], v[10:11], s[12:13]
	v_pk_add_f32 v[42:43], v[0:1], v[8:9] neg_lo:[0,1] neg_hi:[0,1]
	v_mov_b32_e32 v49, v1
	v_pk_mul_f32 v[46:47], v[40:41], s[10:11]
	v_pk_fma_f32 v[40:41], v[40:41], s[10:11], v[4:5]
	v_pk_fma_f32 v[38:39], v[38:39], s[20:21], v[34:35] op_sel_hi:[1,0,1] neg_lo:[1,0,0] neg_hi:[1,0,0]
	v_pk_mul_f32 v[44:45], v[42:43], s[14:15]
	v_pk_fma_f32 v[42:43], v[42:43], s[14:15], v[10:11]
	v_pk_add_f32 v[48:49], v[48:49], v[6:7]
	v_pk_add_f32 v[40:41], v[40:41], v[38:39]
	v_pk_fma_f32 v[42:43], v[48:49], s[6:7], v[42:43] op_sel_hi:[1,0,1]
	v_lshl_add_u64 v[58:59], v[58:59], 3, v[12:13]
	v_pk_add_f32 v[50:51], v[40:41], v[42:43] neg_lo:[0,1] neg_hi:[0,1]
	v_pk_add_f32 v[40:41], v[40:41], v[42:43]
	v_lshl_add_u64 v[62:63], v[62:63], 3, v[12:13]
	global_store_dwordx2 v[58:59], v[34:35], off
	v_mov_b32_e32 v34, v40
	v_mov_b32_e32 v35, v51
	;; [unrolled: 1-line block ×6, first 2 shown]
	global_store_dwordx2 v[62:63], v[34:35], off
	v_mov_b32_e32 v34, v4
	v_mov_b32_e32 v35, v47
	v_pk_add_f32 v[2:3], v[2:3], v[36:37] neg_lo:[0,1] neg_hi:[0,1]
	v_pk_add_f32 v[0:1], v[8:9], v[6:7] neg_lo:[0,1] neg_hi:[0,1]
	v_mov_b32_e32 v6, v10
	v_mov_b32_e32 v7, v45
	;; [unrolled: 1-line block ×4, first 2 shown]
	v_pk_fma_f32 v[32:33], v[2:3], s[16:17], v[34:35] op_sel_hi:[1,0,1] neg_lo:[1,0,1] neg_hi:[1,0,1]
	v_pk_fma_f32 v[6:7], v[0:1], s[18:19], v[6:7] op_sel_hi:[1,0,1] neg_lo:[1,0,1] neg_hi:[1,0,1]
	v_pk_fma_f32 v[0:1], v[0:1], s[18:19], v[44:45] op_sel_hi:[1,0,1] neg_lo:[0,0,1] neg_hi:[0,0,1]
	v_pk_fma_f32 v[2:3], v[2:3], s[16:17], v[46:47] op_sel_hi:[1,0,1] neg_lo:[0,0,1] neg_hi:[0,0,1]
	v_pk_add_f32 v[32:33], v[32:33], v[38:39]
	v_pk_fma_f32 v[6:7], v[48:49], s[6:7], v[6:7] op_sel_hi:[1,0,1]
	v_pk_fma_f32 v[0:1], v[48:49], s[6:7], v[0:1] op_sel_hi:[1,0,1]
	v_pk_add_f32 v[2:3], v[2:3], v[38:39]
	v_pk_add_f32 v[8:9], v[32:33], v[6:7] neg_lo:[0,1] neg_hi:[0,1]
	v_pk_add_f32 v[6:7], v[32:33], v[6:7]
	v_pk_add_f32 v[4:5], v[2:3], v[0:1]
	v_pk_add_f32 v[0:1], v[2:3], v[0:1] neg_lo:[0,1] neg_hi:[0,1]
	v_lshl_add_u64 v[64:65], v[64:65], 3, v[12:13]
	v_lshl_add_u64 v[66:67], v[66:67], 3, v[12:13]
	;; [unrolled: 1-line block ×5, first 2 shown]
	v_mov_b32_e32 v32, v6
	v_mov_b32_e32 v33, v9
	;; [unrolled: 1-line block ×7, first 2 shown]
	global_store_dwordx2 v[64:65], v[32:33], off
	global_store_dwordx2 v[66:67], v[2:3], off
	;; [unrolled: 1-line block ×5, first 2 shown]
	s_and_b64 exec, exec, s[0:1]
	s_cbranch_execz .LBB0_24
; %bb.23:
	v_subrev_u32_e32 v0, 64, v78
	v_cndmask_b32_e64 v0, v0, v14, s[0:1]
	v_mul_lo_u32 v60, v0, 6
	v_lshl_add_u64 v[32:33], v[60:61], 3, s[4:5]
	global_load_dwordx4 v[0:3], v[32:33], off offset:2288
	global_load_dwordx4 v[4:7], v[32:33], off offset:2304
	;; [unrolled: 1-line block ×3, first 2 shown]
	v_mov_b32_e32 v19, v21
	v_mov_b32_e32 v30, v29
	;; [unrolled: 1-line block ×5, first 2 shown]
	s_mov_b32 s0, 0xbf955555
	s_waitcnt vmcnt(2)
	v_mul_f32_e32 v38, v20, v1
	v_mov_b32_e32 v34, v3
	s_waitcnt vmcnt(0)
	v_mul_f32_e32 v40, v22, v11
	v_mov_b32_e32 v35, v4
	v_mov_b32_e32 v36, v7
	;; [unrolled: 1-line block ×3, first 2 shown]
	v_mul_f32_e32 v33, v31, v9
	v_mul_f32_e32 v3, v25, v3
	v_mov_b32_e32 v46, v1
	v_mov_b32_e32 v47, v4
	;; [unrolled: 1-line block ×4, first 2 shown]
	v_fmac_f32_e32 v38, v26, v0
	v_fmac_f32_e32 v40, v28, v10
	v_mov_b32_e32 v42, v5
	v_mov_b32_e32 v44, v5
	;; [unrolled: 1-line block ×6, first 2 shown]
	v_fma_f32 v3, v18, v2, -v3
	v_pk_mul_f32 v[10:11], v[18:19], v[34:35]
	v_pk_mul_f32 v[18:19], v[26:27], v[46:47]
	v_fma_f32 v27, v15, v8, -v33
	v_pk_mul_f32 v[30:31], v[30:31], v[36:37]
	v_mov_b32_e32 v8, v6
	v_pk_mul_f32 v[28:29], v[28:29], v[48:49]
	v_add_f32_e32 v33, v38, v40
	v_pk_fma_f32 v[34:35], v[24:25], v[42:43], v[10:11] op_sel:[0,0,1] op_sel_hi:[1,1,0] neg_lo:[1,0,0] neg_hi:[1,0,0]
	v_pk_fma_f32 v[10:11], v[24:25], v[44:45], v[10:11] op_sel:[0,0,1] op_sel_hi:[1,1,0]
	v_pk_fma_f32 v[24:25], v[20:21], v[0:1], v[18:19] neg_lo:[0,0,1] neg_hi:[0,0,1]
	v_pk_fma_f32 v[0:1], v[20:21], v[0:1], v[18:19]
	v_pk_fma_f32 v[6:7], v[32:33], v[6:7], v[30:31] op_sel_hi:[0,1,1] neg_lo:[0,0,1] neg_hi:[0,0,1]
	v_pk_fma_f32 v[8:9], v[14:15], v[8:9], v[30:31]
	v_pk_fma_f32 v[14:15], v[22:23], v[4:5], v[28:29] neg_lo:[0,0,1] neg_hi:[0,0,1]
	v_pk_fma_f32 v[4:5], v[22:23], v[4:5], v[28:29]
	v_mov_b32_e32 v35, v11
	v_mov_b32_e32 v25, v1
	;; [unrolled: 1-line block ×12, first 2 shown]
	v_add_f32_e32 v0, v3, v27
	v_pk_add_f32 v[10:11], v[38:39], v[40:41] neg_lo:[0,1] neg_hi:[0,1]
	v_pk_add_f32 v[2:3], v[2:3], v[26:27] neg_lo:[0,1] neg_hi:[0,1]
	v_pk_add_f32 v[6:7], v[34:35], v[6:7]
	v_pk_add_f32 v[14:15], v[24:25], v[14:15]
	v_pk_add_f32 v[4:5], v[4:5], v[8:9] neg_lo:[0,1] neg_hi:[0,1]
	v_mov_b32_e32 v32, v6
	v_mov_b32_e32 v1, v15
	v_pk_add_f32 v[22:23], v[4:5], v[2:3]
	v_mov_b32_e32 v24, v4
	v_mov_b32_e32 v25, v11
	;; [unrolled: 1-line block ×7, first 2 shown]
	v_add_f32_e32 v8, v0, v14
	v_add_f32_e32 v19, v7, v33
	v_pk_add_f32 v[20:21], v[14:15], v[6:7] neg_lo:[0,1] neg_hi:[0,1]
	v_mov_b32_e32 v9, v15
	v_mov_b32_e32 v18, v6
	v_pk_add_f32 v[30:31], v[32:33], v[0:1] neg_lo:[0,1] neg_hi:[0,1]
	v_pk_add_f32 v[24:25], v[24:25], v[26:27] neg_lo:[0,1] neg_hi:[0,1]
	v_pk_add_f32 v[4:5], v[28:29], v[4:5] neg_lo:[0,1] neg_hi:[0,1]
	v_pk_add_f32 v[8:9], v[8:9], v[18:19]
	v_pk_add_f32 v[18:19], v[22:23], v[10:11]
	v_pk_mul_f32 v[22:23], v[20:21], s[2:3]
	v_pk_mul_f32 v[26:27], v[30:31], s[10:11]
	;; [unrolled: 1-line block ×4, first 2 shown]
	v_mov_b32_e32 v1, v7
	v_mov_b32_e32 v15, v33
	v_pk_add_f32 v[16:17], v[16:17], v[8:9]
	v_pk_fma_f32 v[20:21], v[20:21], s[2:3], v[26:27]
	v_pk_fma_f32 v[4:5], v[4:5], s[12:13], v[24:25]
	v_pk_add_f32 v[0:1], v[0:1], v[14:15] neg_lo:[0,1] neg_hi:[0,1]
	v_pk_add_f32 v[2:3], v[2:3], v[10:11] neg_lo:[0,1] neg_hi:[0,1]
	v_mov_b32_e32 v6, v22
	v_mov_b32_e32 v7, v27
	;; [unrolled: 1-line block ×6, first 2 shown]
	v_pk_fma_f32 v[8:9], v[8:9], s[0:1], v[16:17] op_sel_hi:[1,0,1]
	v_pk_fma_f32 v[6:7], v[0:1], s[16:17], v[6:7] op_sel_hi:[1,0,1] neg_lo:[1,0,1] neg_hi:[1,0,1]
	v_pk_fma_f32 v[10:11], v[2:3], s[18:19], v[10:11] op_sel_hi:[1,0,1] neg_lo:[1,0,1] neg_hi:[1,0,1]
	v_pk_fma_f32 v[0:1], v[0:1], s[16:17], v[26:27] op_sel_hi:[1,0,1] neg_lo:[0,0,1] neg_hi:[0,0,1]
	v_pk_fma_f32 v[2:3], v[2:3], s[18:19], v[24:25] op_sel_hi:[1,0,1] neg_lo:[0,0,1] neg_hi:[0,0,1]
	v_pk_add_f32 v[20:21], v[20:21], v[8:9]
	v_pk_fma_f32 v[4:5], v[18:19], s[6:7], v[4:5] op_sel_hi:[1,0,1]
	v_pk_add_f32 v[6:7], v[6:7], v[8:9]
	v_pk_add_f32 v[0:1], v[0:1], v[8:9]
	v_pk_fma_f32 v[2:3], v[18:19], s[6:7], v[2:3] op_sel_hi:[1,0,1]
	v_pk_fma_f32 v[8:9], v[18:19], s[6:7], v[10:11] op_sel_hi:[1,0,1]
	v_add_u32_e32 v19, 0xe0, v78
	v_pk_add_f32 v[14:15], v[6:7], v[8:9]
	v_pk_add_f32 v[6:7], v[6:7], v[8:9] neg_lo:[0,1] neg_hi:[0,1]
	v_pk_add_f32 v[8:9], v[0:1], v[2:3] neg_lo:[0,1] neg_hi:[0,1]
	v_pk_add_f32 v[0:1], v[0:1], v[2:3]
	v_mad_u64_u32 v[2:3], s[0:1], s8, v19, 0
	v_mov_b32_e32 v18, v3
	v_mad_u64_u32 v[18:19], s[0:1], s9, v19, v[18:19]
	v_mov_b32_e32 v3, v18
	v_lshl_add_u64 v[2:3], v[2:3], 3, v[12:13]
	global_store_dwordx2 v[2:3], v[16:17], off
	v_or_b32_e32 v17, 0x200, v78
	v_mad_u64_u32 v[2:3], s[0:1], s8, v17, 0
	v_mov_b32_e32 v16, v3
	v_mad_u64_u32 v[16:17], s[0:1], s9, v17, v[16:17]
	v_pk_add_f32 v[10:11], v[20:21], v[4:5]
	v_pk_add_f32 v[4:5], v[20:21], v[4:5] neg_lo:[0,1] neg_hi:[0,1]
	v_mov_b32_e32 v3, v16
	v_lshl_add_u64 v[2:3], v[2:3], 3, v[12:13]
	v_mov_b32_e32 v16, v10
	v_mov_b32_e32 v17, v5
	v_add_u32_e32 v5, 0x320, v78
	global_store_dwordx2 v[2:3], v[16:17], off
	v_mad_u64_u32 v[2:3], s[0:1], s8, v5, 0
	v_mov_b32_e32 v10, v3
	v_mad_u64_u32 v[16:17], s[0:1], s9, v5, v[10:11]
	v_mov_b32_e32 v3, v16
	v_lshl_add_u64 v[2:3], v[2:3], 3, v[12:13]
	v_mov_b32_e32 v16, v14
	v_mov_b32_e32 v17, v7
	v_or_b32_e32 v5, 0x440, v78
	global_store_dwordx2 v[2:3], v[16:17], off
	v_mad_u64_u32 v[2:3], s[0:1], s8, v5, 0
	v_mov_b32_e32 v10, v3
	v_mad_u64_u32 v[16:17], s[0:1], s9, v5, v[10:11]
	v_mov_b32_e32 v3, v16
	v_lshl_add_u64 v[2:3], v[2:3], 3, v[12:13]
	v_mov_b32_e32 v16, v8
	v_mov_b32_e32 v17, v1
	v_add_u32_e32 v1, 0x560, v78
	global_store_dwordx2 v[2:3], v[16:17], off
	v_mad_u64_u32 v[2:3], s[0:1], s8, v1, 0
	v_mov_b32_e32 v8, v3
	v_mad_u64_u32 v[16:17], s[0:1], s9, v1, v[8:9]
	v_mov_b32_e32 v3, v16
	v_lshl_add_u64 v[2:3], v[2:3], 3, v[12:13]
	v_mov_b32_e32 v1, v9
	global_store_dwordx2 v[2:3], v[0:1], off
	v_or_b32_e32 v3, 0x680, v78
	v_mad_u64_u32 v[0:1], s[0:1], s8, v3, 0
	v_mov_b32_e32 v2, v1
	v_mad_u64_u32 v[2:3], s[0:1], s9, v3, v[2:3]
	v_mov_b32_e32 v1, v2
	v_lshl_add_u64 v[0:1], v[0:1], 3, v[12:13]
	v_mov_b32_e32 v7, v15
	v_add_u32_e32 v3, 0x7a0, v78
	global_store_dwordx2 v[0:1], v[6:7], off
	v_mad_u64_u32 v[0:1], s[0:1], s8, v3, 0
	v_mov_b32_e32 v2, v1
	v_mad_u64_u32 v[2:3], s[0:1], s9, v3, v[2:3]
	v_mov_b32_e32 v1, v2
	v_lshl_add_u64 v[0:1], v[0:1], 3, v[12:13]
	v_mov_b32_e32 v5, v11
	global_store_dwordx2 v[0:1], v[4:5], off
	s_endpgm
.LBB0_24:
	s_endpgm
	.section	.rodata,"a",@progbits
	.p2align	6, 0x0
	.amdhsa_kernel fft_rtc_fwd_len2016_factors_2_2_2_2_2_3_3_7_wgs_224_tpt_112_halfLds_sp_ip_CI_sbrr_dirReg
		.amdhsa_group_segment_fixed_size 0
		.amdhsa_private_segment_fixed_size 0
		.amdhsa_kernarg_size 88
		.amdhsa_user_sgpr_count 2
		.amdhsa_user_sgpr_dispatch_ptr 0
		.amdhsa_user_sgpr_queue_ptr 0
		.amdhsa_user_sgpr_kernarg_segment_ptr 1
		.amdhsa_user_sgpr_dispatch_id 0
		.amdhsa_user_sgpr_kernarg_preload_length 0
		.amdhsa_user_sgpr_kernarg_preload_offset 0
		.amdhsa_user_sgpr_private_segment_size 0
		.amdhsa_uses_dynamic_stack 0
		.amdhsa_enable_private_segment 0
		.amdhsa_system_sgpr_workgroup_id_x 1
		.amdhsa_system_sgpr_workgroup_id_y 0
		.amdhsa_system_sgpr_workgroup_id_z 0
		.amdhsa_system_sgpr_workgroup_info 0
		.amdhsa_system_vgpr_workitem_id 0
		.amdhsa_next_free_vgpr 98
		.amdhsa_next_free_sgpr 24
		.amdhsa_accum_offset 100
		.amdhsa_reserve_vcc 1
		.amdhsa_float_round_mode_32 0
		.amdhsa_float_round_mode_16_64 0
		.amdhsa_float_denorm_mode_32 3
		.amdhsa_float_denorm_mode_16_64 3
		.amdhsa_dx10_clamp 1
		.amdhsa_ieee_mode 1
		.amdhsa_fp16_overflow 0
		.amdhsa_tg_split 0
		.amdhsa_exception_fp_ieee_invalid_op 0
		.amdhsa_exception_fp_denorm_src 0
		.amdhsa_exception_fp_ieee_div_zero 0
		.amdhsa_exception_fp_ieee_overflow 0
		.amdhsa_exception_fp_ieee_underflow 0
		.amdhsa_exception_fp_ieee_inexact 0
		.amdhsa_exception_int_div_zero 0
	.end_amdhsa_kernel
	.text
.Lfunc_end0:
	.size	fft_rtc_fwd_len2016_factors_2_2_2_2_2_3_3_7_wgs_224_tpt_112_halfLds_sp_ip_CI_sbrr_dirReg, .Lfunc_end0-fft_rtc_fwd_len2016_factors_2_2_2_2_2_3_3_7_wgs_224_tpt_112_halfLds_sp_ip_CI_sbrr_dirReg
                                        ; -- End function
	.section	.AMDGPU.csdata,"",@progbits
; Kernel info:
; codeLenInByte = 13752
; NumSgprs: 30
; NumVgprs: 98
; NumAgprs: 0
; TotalNumVgprs: 98
; ScratchSize: 0
; MemoryBound: 0
; FloatMode: 240
; IeeeMode: 1
; LDSByteSize: 0 bytes/workgroup (compile time only)
; SGPRBlocks: 3
; VGPRBlocks: 12
; NumSGPRsForWavesPerEU: 30
; NumVGPRsForWavesPerEU: 98
; AccumOffset: 100
; Occupancy: 4
; WaveLimiterHint : 1
; COMPUTE_PGM_RSRC2:SCRATCH_EN: 0
; COMPUTE_PGM_RSRC2:USER_SGPR: 2
; COMPUTE_PGM_RSRC2:TRAP_HANDLER: 0
; COMPUTE_PGM_RSRC2:TGID_X_EN: 1
; COMPUTE_PGM_RSRC2:TGID_Y_EN: 0
; COMPUTE_PGM_RSRC2:TGID_Z_EN: 0
; COMPUTE_PGM_RSRC2:TIDIG_COMP_CNT: 0
; COMPUTE_PGM_RSRC3_GFX90A:ACCUM_OFFSET: 24
; COMPUTE_PGM_RSRC3_GFX90A:TG_SPLIT: 0
	.text
	.p2alignl 6, 3212836864
	.fill 256, 4, 3212836864
	.type	__hip_cuid_b5bb5a001fa17208,@object ; @__hip_cuid_b5bb5a001fa17208
	.section	.bss,"aw",@nobits
	.globl	__hip_cuid_b5bb5a001fa17208
__hip_cuid_b5bb5a001fa17208:
	.byte	0                               ; 0x0
	.size	__hip_cuid_b5bb5a001fa17208, 1

	.ident	"AMD clang version 19.0.0git (https://github.com/RadeonOpenCompute/llvm-project roc-6.4.0 25133 c7fe45cf4b819c5991fe208aaa96edf142730f1d)"
	.section	".note.GNU-stack","",@progbits
	.addrsig
	.addrsig_sym __hip_cuid_b5bb5a001fa17208
	.amdgpu_metadata
---
amdhsa.kernels:
  - .agpr_count:     0
    .args:
      - .actual_access:  read_only
        .address_space:  global
        .offset:         0
        .size:           8
        .value_kind:     global_buffer
      - .offset:         8
        .size:           8
        .value_kind:     by_value
      - .actual_access:  read_only
        .address_space:  global
        .offset:         16
        .size:           8
        .value_kind:     global_buffer
      - .actual_access:  read_only
        .address_space:  global
        .offset:         24
        .size:           8
        .value_kind:     global_buffer
      - .offset:         32
        .size:           8
        .value_kind:     by_value
      - .actual_access:  read_only
        .address_space:  global
        .offset:         40
        .size:           8
        .value_kind:     global_buffer
      - .actual_access:  read_only
        .address_space:  global
        .offset:         48
        .size:           8
        .value_kind:     global_buffer
      - .offset:         56
        .size:           4
        .value_kind:     by_value
      - .actual_access:  read_only
        .address_space:  global
        .offset:         64
        .size:           8
        .value_kind:     global_buffer
      - .actual_access:  read_only
        .address_space:  global
        .offset:         72
        .size:           8
        .value_kind:     global_buffer
      - .address_space:  global
        .offset:         80
        .size:           8
        .value_kind:     global_buffer
    .group_segment_fixed_size: 0
    .kernarg_segment_align: 8
    .kernarg_segment_size: 88
    .language:       OpenCL C
    .language_version:
      - 2
      - 0
    .max_flat_workgroup_size: 224
    .name:           fft_rtc_fwd_len2016_factors_2_2_2_2_2_3_3_7_wgs_224_tpt_112_halfLds_sp_ip_CI_sbrr_dirReg
    .private_segment_fixed_size: 0
    .sgpr_count:     30
    .sgpr_spill_count: 0
    .symbol:         fft_rtc_fwd_len2016_factors_2_2_2_2_2_3_3_7_wgs_224_tpt_112_halfLds_sp_ip_CI_sbrr_dirReg.kd
    .uniform_work_group_size: 1
    .uses_dynamic_stack: false
    .vgpr_count:     98
    .vgpr_spill_count: 0
    .wavefront_size: 64
amdhsa.target:   amdgcn-amd-amdhsa--gfx950
amdhsa.version:
  - 1
  - 2
...

	.end_amdgpu_metadata
